;; amdgpu-corpus repo=ggml-org/llama.cpp kind=compiled arch=gfx950 opt=O3
	.amdgcn_target "amdgcn-amd-amdhsa--gfx950"
	.amdhsa_code_object_version 6
	.section	.text._ZL18flash_attn_ext_f16ILi192ELi128ELi2ELi16ELb0ELb0EEvPKcS1_S1_S1_S1_PKiPfP15HIP_vector_typeIfLj2EEffffjfiS5_IjLj3EEiiiiiiiiiiiliiliiiiil,"axG",@progbits,_ZL18flash_attn_ext_f16ILi192ELi128ELi2ELi16ELb0ELb0EEvPKcS1_S1_S1_S1_PKiPfP15HIP_vector_typeIfLj2EEffffjfiS5_IjLj3EEiiiiiiiiiiiliiliiiiil,comdat
	.globl	_ZL18flash_attn_ext_f16ILi192ELi128ELi2ELi16ELb0ELb0EEvPKcS1_S1_S1_S1_PKiPfP15HIP_vector_typeIfLj2EEffffjfiS5_IjLj3EEiiiiiiiiiiiliiliiiiil ; -- Begin function _ZL18flash_attn_ext_f16ILi192ELi128ELi2ELi16ELb0ELb0EEvPKcS1_S1_S1_S1_PKiPfP15HIP_vector_typeIfLj2EEffffjfiS5_IjLj3EEiiiiiiiiiiiliiliiiiil
	.p2align	8
	.type	_ZL18flash_attn_ext_f16ILi192ELi128ELi2ELi16ELb0ELb0EEvPKcS1_S1_S1_S1_PKiPfP15HIP_vector_typeIfLj2EEffffjfiS5_IjLj3EEiiiiiiiiiiiliiliiiiil,@function
_ZL18flash_attn_ext_f16ILi192ELi128ELi2ELi16ELb0ELb0EEvPKcS1_S1_S1_S1_PKiPfP15HIP_vector_typeIfLj2EEffffjfiS5_IjLj3EEiiiiiiiiiiiliiliiiiil: ; @_ZL18flash_attn_ext_f16ILi192ELi128ELi2ELi16ELb0ELb0EEvPKcS1_S1_S1_S1_PKiPfP15HIP_vector_typeIfLj2EEffffjfiS5_IjLj3EEiiiiiiiiiiiliiliiiiil
; %bb.0:
	s_load_dwordx2 s[4:5], s[0:1], 0x80
	s_load_dwordx4 s[36:39], s[0:1], 0x64
	s_load_dword s33, s[0:1], 0xd0
	s_mov_b32 s6, 0
	s_waitcnt lgkmcnt(0)
	s_abs_i32 s3, s5
	v_cvt_f32_u32_e32 v1, s3
	s_sub_i32 s9, 0, s3
	s_abs_i32 s8, s37
	s_xor_b32 s7, s37, s5
	v_rcp_iflag_f32_e32 v1, v1
	s_ashr_i32 s7, s7, 31
	v_mul_f32_e32 v1, 0x4f7ffffe, v1
	v_cvt_u32_f32_e32 v1, v1
	s_nop 0
	v_readfirstlane_b32 s10, v1
	s_mul_i32 s9, s9, s10
	s_mul_hi_u32 s9, s10, s9
	s_add_i32 s10, s10, s9
	s_mul_hi_u32 s9, s8, s10
	s_mul_i32 s10, s9, s3
	s_sub_i32 s8, s8, s10
	s_add_i32 s11, s9, 1
	s_sub_i32 s10, s8, s3
	s_cmp_ge_u32 s8, s3
	s_cselect_b32 s9, s11, s9
	s_cselect_b32 s8, s10, s8
	s_add_i32 s10, s9, 1
	s_cmp_ge_u32 s8, s3
	s_cselect_b32 s3, s10, s9
	s_add_i32 s4, s4, 63
	s_xor_b32 s3, s3, s7
	s_ashr_i32 s8, s4, 31
	s_sub_i32 s3, s3, s7
	s_lshr_b32 s7, s8, 26
	s_add_i32 s4, s4, s7
	s_ashr_i32 s84, s4, 6
	s_add_i32 s4, s36, 1
	s_lshr_b32 s80, s4, 1
	s_add_i32 s4, s3, 15
	s_ashr_i32 s7, s4, 31
	s_lshr_b32 s7, s7, 28
	s_add_i32 s4, s4, s7
	s_ashr_i32 s4, s4, 4
	s_mul_i32 s81, s80, s84
	s_mul_i32 s82, s81, s4
	;; [unrolled: 1-line block ×4, first 2 shown]
	s_ashr_i32 s11, s10, 31
	s_mul_i32 s4, s11, s2
	s_mul_hi_u32 s5, s10, s2
	s_add_i32 s7, s5, s4
	s_cmp_lg_u64 s[6:7], 0
	s_mul_i32 s6, s10, s2
	s_cbranch_scc0 .LBB0_363
; %bb.1:
	s_add_u32 s4, s33, 0
	s_addc_u32 s5, 0, 0
	s_xor_b64 s[8:9], s[4:5], 0
	v_cvt_f32_u32_e32 v1, s8
	v_cvt_f32_u32_e32 v2, s9
	s_sub_u32 s14, 0, s8
	s_subb_u32 s15, 0, s9
	v_fmamk_f32 v1, v2, 0x4f800000, v1
	v_rcp_f32_e32 v1, v1
	s_nop 0
	v_mul_f32_e32 v1, 0x5f7ffffc, v1
	v_mul_f32_e32 v2, 0x2f800000, v1
	v_trunc_f32_e32 v2, v2
	v_fmamk_f32 v1, v2, 0xcf800000, v1
	v_cvt_u32_f32_e32 v2, v2
	v_cvt_u32_f32_e32 v1, v1
	v_readfirstlane_b32 s16, v2
	v_readfirstlane_b32 s12, v1
	s_mul_i32 s13, s14, s16
	s_mul_hi_u32 s18, s14, s12
	s_mul_i32 s17, s15, s12
	s_add_i32 s13, s18, s13
	s_add_i32 s13, s13, s17
	s_mul_i32 s19, s14, s12
	s_mul_i32 s18, s12, s13
	s_mul_hi_u32 s20, s12, s19
	s_mul_hi_u32 s17, s12, s13
	s_add_u32 s18, s20, s18
	s_addc_u32 s17, 0, s17
	s_mul_hi_u32 s21, s16, s19
	s_mul_i32 s19, s16, s19
	s_add_u32 s18, s18, s19
	s_mul_hi_u32 s20, s16, s13
	s_addc_u32 s17, s17, s21
	s_addc_u32 s18, s20, 0
	s_mul_i32 s13, s16, s13
	s_add_u32 s13, s17, s13
	s_addc_u32 s17, 0, s18
	s_add_u32 s18, s12, s13
	s_cselect_b64 s[12:13], -1, 0
	s_cmp_lg_u64 s[12:13], 0
	s_addc_u32 s16, s16, s17
	s_mul_i32 s12, s14, s16
	s_mul_hi_u32 s13, s14, s18
	s_add_i32 s12, s13, s12
	s_mul_i32 s15, s15, s18
	s_add_i32 s12, s12, s15
	s_mul_i32 s14, s14, s18
	s_mul_hi_u32 s15, s16, s14
	s_mul_i32 s17, s16, s14
	s_mul_i32 s20, s18, s12
	s_mul_hi_u32 s14, s18, s14
	s_mul_hi_u32 s19, s18, s12
	s_add_u32 s14, s14, s20
	s_addc_u32 s19, 0, s19
	s_add_u32 s14, s14, s17
	s_mul_hi_u32 s13, s16, s12
	s_addc_u32 s14, s19, s15
	s_addc_u32 s13, s13, 0
	s_mul_i32 s12, s16, s12
	s_add_u32 s12, s14, s12
	s_addc_u32 s14, 0, s13
	s_add_u32 s17, s18, s12
	s_cselect_b64 s[12:13], -1, 0
	s_cmp_lg_u64 s[12:13], 0
	s_addc_u32 s16, s16, s14
	s_ashr_i32 s12, s7, 31
	s_add_u32 s14, s6, s12
	s_mov_b32 s13, s12
	s_addc_u32 s15, s7, s12
	s_xor_b64 s[14:15], s[14:15], s[12:13]
	s_mul_i32 s18, s14, s16
	s_mul_hi_u32 s19, s14, s17
	s_mul_hi_u32 s7, s14, s16
	s_add_u32 s18, s19, s18
	s_addc_u32 s7, 0, s7
	s_mul_hi_u32 s20, s15, s17
	s_mul_i32 s17, s15, s17
	s_add_u32 s17, s18, s17
	s_mul_hi_u32 s19, s15, s16
	s_addc_u32 s7, s7, s20
	s_addc_u32 s17, s19, 0
	s_mul_i32 s16, s15, s16
	s_add_u32 s7, s7, s16
	s_addc_u32 s20, 0, s17
	s_mul_i32 s16, s8, s20
	s_mul_hi_u32 s17, s8, s7
	s_add_i32 s16, s17, s16
	s_mul_i32 s17, s9, s7
	s_add_i32 s21, s16, s17
	s_sub_i32 s18, s15, s21
	s_mul_i32 s16, s8, s7
	s_sub_u32 s14, s14, s16
	s_cselect_b64 s[16:17], -1, 0
	s_cmp_lg_u64 s[16:17], 0
	s_subb_u32 s22, s18, s9
	s_sub_u32 s23, s14, s8
	s_cselect_b64 s[18:19], -1, 0
	s_cmp_lg_u64 s[18:19], 0
	s_subb_u32 s18, s22, 0
	s_cmp_ge_u32 s18, s9
	s_cselect_b32 s19, -1, 0
	s_cmp_ge_u32 s23, s8
	s_cselect_b32 s22, -1, 0
	s_cmp_eq_u32 s18, s9
	s_cselect_b32 s18, s22, s19
	s_add_u32 s19, s7, 1
	s_addc_u32 s22, s20, 0
	s_add_u32 s23, s7, 2
	s_addc_u32 s24, s20, 0
	s_cmp_lg_u32 s18, 0
	s_cselect_b32 s18, s23, s19
	s_cselect_b32 s19, s24, s22
	s_cmp_lg_u64 s[16:17], 0
	s_subb_u32 s15, s15, s21
	s_cmp_ge_u32 s15, s9
	s_cselect_b32 s16, -1, 0
	s_cmp_ge_u32 s14, s8
	s_cselect_b32 s8, -1, 0
	s_cmp_eq_u32 s15, s9
	s_cselect_b32 s8, s8, s16
	s_cmp_lg_u32 s8, 0
	s_cselect_b32 s9, s19, s20
	s_cselect_b32 s8, s18, s7
	s_xor_b64 s[12:13], s[12:13], 0
	s_xor_b64 s[8:9], s[8:9], s[12:13]
	s_sub_u32 s56, s8, s12
	s_load_dwordx2 s[54:55], s[0:1], 0x74
	v_cvt_f32_u32_e32 v1, s33
	s_cbranch_execnz .LBB0_3
.LBB0_2:
	v_rcp_iflag_f32_e32 v2, v1
	s_sub_i32 s4, 0, s33
	v_mul_f32_e32 v2, 0x4f7ffffe, v2
	v_cvt_u32_f32_e32 v2, v2
	s_nop 0
	v_readfirstlane_b32 s5, v2
	s_mul_i32 s4, s4, s5
	s_mul_hi_u32 s4, s5, s4
	s_add_i32 s5, s5, s4
	s_mul_hi_u32 s4, s6, s5
	s_mul_i32 s7, s4, s33
	s_sub_i32 s6, s6, s7
	s_add_i32 s5, s4, 1
	s_sub_i32 s7, s6, s33
	s_cmp_ge_u32 s6, s33
	s_cselect_b32 s4, s5, s4
	s_cselect_b32 s6, s7, s6
	s_add_i32 s5, s4, 1
	s_cmp_ge_u32 s6, s33
	s_cselect_b32 s56, s5, s4
.LBB0_3:
	s_add_i32 s4, s2, 1
	s_mul_i32 s5, s11, s4
	s_mul_hi_u32 s6, s10, s4
	s_add_i32 s9, s6, s5
	s_mov_b32 s8, 0
	s_cmp_lg_u64 s[8:9], 0
	s_mul_i32 s8, s10, s4
	s_cbranch_scc0 .LBB0_364
; %bb.4:
	s_add_u32 s4, s33, 0
	s_addc_u32 s5, 0, 0
	s_xor_b64 s[6:7], s[4:5], 0
	v_cvt_f32_u32_e32 v2, s6
	v_cvt_f32_u32_e32 v3, s7
	s_sub_u32 s12, 0, s6
	s_subb_u32 s13, 0, s7
	v_fmamk_f32 v2, v3, 0x4f800000, v2
	v_rcp_f32_e32 v2, v2
	s_nop 0
	v_mul_f32_e32 v2, 0x5f7ffffc, v2
	v_mul_f32_e32 v3, 0x2f800000, v2
	v_trunc_f32_e32 v3, v3
	v_fmamk_f32 v2, v3, 0xcf800000, v2
	v_cvt_u32_f32_e32 v3, v3
	v_cvt_u32_f32_e32 v2, v2
	v_readfirstlane_b32 s14, v3
	v_readfirstlane_b32 s10, v2
	s_mul_i32 s11, s12, s14
	s_mul_hi_u32 s16, s12, s10
	s_mul_i32 s15, s13, s10
	s_add_i32 s11, s16, s11
	s_add_i32 s11, s11, s15
	s_mul_i32 s17, s12, s10
	s_mul_i32 s16, s10, s11
	s_mul_hi_u32 s18, s10, s17
	s_mul_hi_u32 s15, s10, s11
	s_add_u32 s16, s18, s16
	s_addc_u32 s15, 0, s15
	s_mul_hi_u32 s19, s14, s17
	s_mul_i32 s17, s14, s17
	s_add_u32 s16, s16, s17
	s_mul_hi_u32 s18, s14, s11
	s_addc_u32 s15, s15, s19
	s_addc_u32 s16, s18, 0
	s_mul_i32 s11, s14, s11
	s_add_u32 s11, s15, s11
	s_addc_u32 s15, 0, s16
	s_add_u32 s16, s10, s11
	s_cselect_b64 s[10:11], -1, 0
	s_cmp_lg_u64 s[10:11], 0
	s_addc_u32 s14, s14, s15
	s_mul_i32 s10, s12, s14
	s_mul_hi_u32 s11, s12, s16
	s_add_i32 s10, s11, s10
	s_mul_i32 s13, s13, s16
	s_add_i32 s10, s10, s13
	s_mul_i32 s12, s12, s16
	s_mul_hi_u32 s13, s14, s12
	s_mul_i32 s15, s14, s12
	s_mul_i32 s18, s16, s10
	s_mul_hi_u32 s12, s16, s12
	s_mul_hi_u32 s17, s16, s10
	s_add_u32 s12, s12, s18
	s_addc_u32 s17, 0, s17
	s_add_u32 s12, s12, s15
	s_mul_hi_u32 s11, s14, s10
	s_addc_u32 s12, s17, s13
	s_addc_u32 s11, s11, 0
	s_mul_i32 s10, s14, s10
	s_add_u32 s10, s12, s10
	s_addc_u32 s12, 0, s11
	s_add_u32 s15, s16, s10
	s_cselect_b64 s[10:11], -1, 0
	s_cmp_lg_u64 s[10:11], 0
	s_addc_u32 s14, s14, s12
	s_ashr_i32 s10, s9, 31
	s_add_u32 s12, s8, s10
	s_mov_b32 s11, s10
	s_addc_u32 s13, s9, s10
	s_xor_b64 s[12:13], s[12:13], s[10:11]
	s_mul_i32 s16, s12, s14
	s_mul_hi_u32 s17, s12, s15
	s_mul_hi_u32 s9, s12, s14
	s_add_u32 s16, s17, s16
	s_addc_u32 s9, 0, s9
	s_mul_hi_u32 s18, s13, s15
	s_mul_i32 s15, s13, s15
	s_add_u32 s15, s16, s15
	s_mul_hi_u32 s17, s13, s14
	s_addc_u32 s9, s9, s18
	s_addc_u32 s15, s17, 0
	s_mul_i32 s14, s13, s14
	s_add_u32 s9, s9, s14
	s_addc_u32 s18, 0, s15
	s_mul_i32 s14, s6, s18
	s_mul_hi_u32 s15, s6, s9
	s_add_i32 s14, s15, s14
	s_mul_i32 s15, s7, s9
	s_add_i32 s19, s14, s15
	s_sub_i32 s16, s13, s19
	s_mul_i32 s14, s6, s9
	s_sub_u32 s12, s12, s14
	s_cselect_b64 s[14:15], -1, 0
	s_cmp_lg_u64 s[14:15], 0
	s_subb_u32 s20, s16, s7
	s_sub_u32 s21, s12, s6
	s_cselect_b64 s[16:17], -1, 0
	s_cmp_lg_u64 s[16:17], 0
	s_subb_u32 s16, s20, 0
	s_cmp_ge_u32 s16, s7
	s_cselect_b32 s17, -1, 0
	s_cmp_ge_u32 s21, s6
	s_cselect_b32 s20, -1, 0
	s_cmp_eq_u32 s16, s7
	s_cselect_b32 s16, s20, s17
	s_add_u32 s17, s9, 1
	s_addc_u32 s20, s18, 0
	s_add_u32 s21, s9, 2
	s_addc_u32 s22, s18, 0
	s_cmp_lg_u32 s16, 0
	s_cselect_b32 s16, s21, s17
	s_cselect_b32 s17, s22, s20
	s_cmp_lg_u64 s[14:15], 0
	s_subb_u32 s13, s13, s19
	s_cmp_ge_u32 s13, s7
	s_cselect_b32 s14, -1, 0
	s_cmp_ge_u32 s12, s6
	s_cselect_b32 s6, -1, 0
	s_cmp_eq_u32 s13, s7
	s_cselect_b32 s6, s6, s14
	s_cmp_lg_u32 s6, 0
	s_cselect_b32 s7, s17, s18
	s_cselect_b32 s6, s16, s9
	s_xor_b64 s[10:11], s[10:11], 0
	s_xor_b64 s[6:7], s[6:7], s[10:11]
	s_sub_u32 s60, s6, s10
	s_load_dwordx2 s[44:45], s[0:1], 0x5c
	s_cbranch_execnz .LBB0_6
.LBB0_5:
	v_rcp_iflag_f32_e32 v1, v1
	s_sub_i32 s4, 0, s33
	v_mul_f32_e32 v1, 0x4f7ffffe, v1
	v_cvt_u32_f32_e32 v1, v1
	s_nop 0
	v_readfirstlane_b32 s5, v1
	s_mul_i32 s4, s4, s5
	s_mul_hi_u32 s4, s5, s4
	s_add_i32 s5, s5, s4
	s_mul_hi_u32 s4, s8, s5
	s_mul_i32 s6, s4, s33
	s_sub_i32 s6, s8, s6
	s_add_i32 s5, s4, 1
	s_sub_i32 s7, s6, s33
	s_cmp_ge_u32 s6, s33
	s_cselect_b32 s4, s5, s4
	s_cselect_b32 s6, s7, s6
	s_add_i32 s5, s4, 1
	s_cmp_ge_u32 s6, s33
	s_cselect_b32 s60, s5, s4
.LBB0_6:
	s_abs_i32 s85, s84
	v_cvt_f32_u32_e32 v1, s85
	s_load_dwordx16 s[16:31], s[0:1], 0x0
	s_load_dword s6, s[0:1], 0x40
	s_load_dwordx2 s[52:53], s[0:1], 0x8c
	s_load_dwordx4 s[40:43], s[0:1], 0x98
	s_load_dwordx2 s[48:49], s[0:1], 0xa8
	s_load_dwordx2 s[58:59], s[0:1], 0xb8
	;; [unrolled: 1-line block ×3, first 2 shown]
	s_waitcnt lgkmcnt(0)
	s_ashr_i32 s38, s52, 2
	s_sub_i32 s4, 0, s85
	v_rcp_iflag_f32_e32 v1, v1
	s_abs_i32 s1, s56
	s_ashr_i32 s57, s39, 3
	s_ashr_i32 s61, s54, 3
	v_mul_f32_e32 v1, 0x4f7ffffe, v1
	v_cvt_u32_f32_e32 v1, v1
	s_ashr_i32 s46, s59, 1
	s_ashr_i32 s34, s42, 2
	;; [unrolled: 1-line block ×3, first 2 shown]
	v_readfirstlane_b32 s52, v1
	s_mul_i32 s4, s4, s52
	s_mul_hi_u32 s4, s52, s4
	s_add_i32 s52, s52, s4
	s_mul_hi_u32 s4, s1, s52
	s_mul_i32 s4, s4, s85
	s_sub_i32 s1, s1, s4
	s_ashr_i32 s42, s84, 31
	s_sub_i32 s4, s1, s85
	s_cmp_ge_u32 s1, s85
	s_cselect_b32 s1, s4, s1
	s_sub_i32 s4, s1, s85
	s_cmp_ge_u32 s1, s85
	s_cselect_b32 s1, s4, s1
	s_xor_b32 s1, s1, s0
	s_sub_i32 s76, s1, s0
	s_sub_i32 s0, s60, s56
	s_add_i32 s4, s0, s76
	s_min_i32 s98, s84, s4
	s_cmp_gt_i32 s60, s56
	s_cselect_b64 s[10:11], -1, 0
	s_cmp_le_i32 s60, s56
	s_cselect_b64 s[0:1], -1, 0
	s_cmp_gt_i32 s84, s4
	v_cvt_f16_f32_e32 v85, s6
	s_cselect_b64 s[4:5], -1, 0
	s_or_b64 s[0:1], s[4:5], s[0:1]
	v_bfe_u32 v71, v0, 10, 10
	s_mov_b32 s63, 0
	s_and_b64 vcc, exec, s[0:1]
	v_bfe_u32 v49, v0, 10, 4
	v_lshlrev_b32_e32 v75, 3, v71
	v_lshlrev_b32_e32 v73, 4, v71
	v_lshrrev_b32_e32 v87, 10, v0
	v_add_u32_e32 v83, 4, v71
	v_add_u32_e32 v81, 8, v71
	v_add_u32_e32 v79, 12, v71
	v_add_u32_e32 v35, 16, v71
	v_add_u32_e32 v33, 20, v71
	v_add_u32_e32 v31, 24, v71
	v_add_u32_e32 v1, 28, v71
	v_mbcnt_lo_u32_b32 v198, -1, 0
	s_cbranch_vccz .LBB0_9
; %bb.7:
	s_andn2_b64 vcc, exec, s[10:11]
	s_cbranch_vccz .LBB0_308
.LBB0_8:
	s_endpgm
.LBB0_9:
	v_bfe_u32 v6, v0, 3, 7
	v_and_b32_e32 v4, 0x7f0, v75
	s_movk_i32 s11, 0x190
	v_and_b32_e32 v32, 15, v0
	v_and_b32_e32 v7, 30, v6
	;; [unrolled: 1-line block ×3, first 2 shown]
	v_mad_u32_u24 v4, v4, s11, 0
	v_mul_u32_u24_e32 v5, 0x190, v32
	v_lshlrev_b32_e32 v8, 2, v7
	v_bfe_u32 v91, v0, 5, 5
	v_add3_u32 v93, v4, v5, v8
	v_lshlrev_b32_e32 v5, 1, v30
	v_lshlrev_b32_e32 v2, 2, v30
	v_lshl_add_u32 v3, v71, 1, v91
	v_and_b32_e32 v34, 62, v5
	v_add_u32_e32 v9, v75, v6
	v_mul_u32_u24_e32 v4, 0x90, v3
	v_lshlrev_b32_e32 v5, 1, v34
	v_add_u32_e32 v10, 32, v9
	v_and_b32_e32 v48, 28, v2
	v_add_u32_e32 v89, 0, v2
	v_add3_u32 v95, 0, v4, v5
	v_and_b32_e32 v4, 16, v73
	v_mul_u32_u24_e32 v11, 0x110, v10
	v_mul_u32_u24_e32 v13, 0x110, v9
	v_lshlrev_b32_e32 v2, 2, v48
	s_cmp_eq_u64 s[24:25], 0
	v_mul_u32_u24_e32 v5, 0x110, v32
	v_mul_lo_u32 v38, s38, v10
	v_bfe_u32 v10, v0, 4, 6
	v_add3_u32 v97, 0, v13, v2
	v_add3_u32 v99, 0, v11, v2
	v_mul_u32_u24_e32 v2, 0x110, v4
	v_add_u32_e32 v105, 0, v8
	s_cselect_b64 s[64:65], -1, 0
	s_cmp_lg_u64 s[26:27], 0
	v_lshl_add_u32 v10, v71, 2, v10
	v_add3_u32 v166, v105, v5, v2
	v_lshrrev_b32_e32 v2, 2, v0
	s_cselect_b64 s[66:67], -1, 0
	v_mul_lo_u32 v40, s38, v10
	s_lshl_b32 s5, s38, 4
	v_and_b32_e32 v2, 60, v2
	s_movk_i32 s4, 0x90
	v_add_u32_e32 v42, s5, v40
	v_add_u32_e32 v5, v2, v4
	v_bfe_u32 v8, v87, 1, 9
	v_add_u16_e32 v2, v2, v4
	v_add_u32_e32 v44, s5, v42
	v_mad_u32_u24 v11, v8, s4, 0
	v_lshrrev_b16_e32 v2, 1, v2
	v_and_b32_e32 v4, 8, v75
	s_movk_i32 s4, 0x220
	s_lshl_b32 s62, s2, 5
	s_ashr_i32 s47, s46, 31
	s_ashr_i32 s39, s38, 31
	v_add_u32_e32 v46, s5, v44
	v_lshl_add_u32 v167, v2, 2, v11
	v_lshl_add_u32 v2, v5, 1, v11
	s_ashr_i32 s35, s34, 31
	s_lshl_b32 s8, s34, 4
	v_mul_u32_u24_e32 v5, 0x110, v7
	v_or_b32_e32 v6, 1, v6
	v_mad_u32_u24 v4, v4, s4, 0
	v_lshlrev_b32_e32 v7, 1, v32
	s_lshl_b64 s[4:5], s[62:63], 3
	v_mul_u32_u24_e32 v6, 0x110, v6
	v_lshlrev_b32_e32 v5, 1, v5
	v_add_u32_e32 v11, v4, v7
	s_add_u32 s6, s30, s4
	v_add3_u32 v168, v4, v5, v7
	v_add_u32_e32 v169, v11, v5
	v_lshlrev_b32_e32 v5, 1, v6
	s_addc_u32 s7, s31, s5
	s_abs_i32 s86, s83
	v_add3_u32 v170, v4, v5, v7
	v_add_u32_e32 v171, v11, v5
	v_cvt_f32_u32_e32 v5, s86
	v_bfe_u32 v4, v0, 10, 1
	v_cmp_eq_u32_e64 s[12:13], 0, v4
	v_and_b32_e32 v4, 0x400, v0
	v_cmp_ne_u32_e64 s[4:5], 0, v4
	v_rcp_iflag_f32_e32 v4, v5
	s_abs_i32 s87, s82
	v_cvt_f32_u32_e32 v6, s87
	s_abs_i32 s88, s81
	v_mul_f32_e32 v4, 0x4f7ffffe, v4
	v_cvt_u32_f32_e32 v4, v4
	v_cvt_f32_u32_e32 v7, s88
	v_or_b32_e32 v5, v75, v30
	s_sub_i32 s9, 0, s86
	v_lshlrev_b32_e32 v36, 3, v5
	v_rcp_iflag_f32_e32 v5, v6
	v_mul_lo_u32 v6, s9, v4
	v_mul_hi_u32 v6, v4, v6
	v_add_u32_e32 v172, v4, v6
	v_rcp_iflag_f32_e32 v6, v7
	v_mul_f32_e32 v5, 0x4f7ffffe, v5
	v_cvt_u32_f32_e32 v5, v5
	s_sub_i32 s9, 0, s87
	v_mul_f32_e32 v6, 0x4f7ffffe, v6
	v_cvt_u32_f32_e32 v6, v6
	s_abs_i32 s89, s58
	v_mul_lo_u32 v4, s9, v5
	v_cvt_f32_u32_e32 v7, s89
	v_mul_hi_u32 v4, v5, v4
	s_sub_i32 s9, 0, s88
	v_add_u32_e32 v173, v5, v4
	v_mul_lo_u32 v4, s9, v6
	v_mul_hi_u32 v4, v6, v4
	v_mov_b32_e32 v37, 0
	v_rcp_iflag_f32_e32 v7, v7
	v_add_u32_e32 v174, v6, v4
	v_and_b32_e32 v4, 7, v0
	v_lshl_add_u64 v[50:51], s[6:7], 0, v[36:37]
	v_lshlrev_b32_e32 v36, 4, v4
	v_add_u32_e32 v176, 64, v2
	v_add_u32_e32 v177, 0x44, v2
	;; [unrolled: 1-line block ×3, first 2 shown]
	v_and_b32_e32 v4, 31, v0
	v_mul_u32_u24_e32 v178, 0x110, v2
	v_add_u32_e32 v2, v73, v4
	v_mul_u32_u24_e32 v179, 0x110, v2
	v_or_b32_e32 v2, v73, v32
	v_mul_f32_e32 v5, 0x4f7ffffe, v7
	v_mul_u32_u24_e32 v180, 0x110, v2
	v_add_u32_e32 v2, 8, v3
	v_cvt_u32_f32_e32 v5, v5
	v_lshrrev_b32_e32 v181, 4, v2
	v_and_b32_e32 v182, 15, v2
	v_add_u32_e32 v2, 16, v3
	v_lshrrev_b32_e32 v183, 4, v2
	v_lshlrev_b32_e32 v2, 2, v4
	v_add_u32_e32 v184, 0, v2
	v_cmp_gt_u32_e64 s[0:1], 2, v3
	v_lshrrev_b32_e32 v185, 4, v3
	v_and_b32_e32 v186, 15, v3
	v_mul_u32_u24_e32 v187, 0x190, v3
	v_mad_u32_u24 v188, v3, s11, v184
	v_add_u32_e32 v3, 24, v3
	v_or_b32_e32 v4, 64, v4
	s_movk_i32 s11, 0xe0
	v_bfe_u32 v70, v71, 1, 4
	v_lshrrev_b32_e32 v189, 4, v3
	v_and_b32_e32 v190, 15, v3
	v_mad_u64_u32 v[64:65], s[14:15], v186, s61, v[4:5]
	v_and_or_b32 v3, v87, s11, v70
	v_mad_u64_u32 v[66:67], s[14:15], v182, s61, v[4:5]
	v_mul_u32_u24_e32 v65, 0x110, v3
	v_add_u32_e32 v3, 2, v8
	v_lshrrev_b32_e32 v67, 4, v3
	v_and_b32_e32 v72, 15, v3
	v_mad_u64_u32 v[68:69], s[14:15], v190, s61, v[4:5]
	v_lshl_or_b32 v3, v67, 5, v72
	v_mul_u32_u24_e32 v69, 0x110, v3
	v_add_u32_e32 v3, 4, v8
	v_lshrrev_b32_e32 v191, 4, v3
	v_and_b32_e32 v74, 15, v3
	v_lshl_or_b32 v3, v191, 5, v74
	v_mul_u32_u24_e32 v192, 0x110, v3
	v_add_u32_e32 v3, 6, v8
	v_lshrrev_b32_e32 v193, 4, v3
	v_and_b32_e32 v76, 15, v3
	;; [unrolled: 5-line block ×4, first 2 shown]
	v_lshl_or_b32 v3, v197, 5, v80
	v_mul_u32_u24_e32 v3, 0x110, v3
	v_accvgpr_write_b32 a9, v3
	v_add_u32_e32 v3, 12, v8
	v_lshrrev_b32_e32 v88, 4, v3
	v_and_b32_e32 v82, 15, v3
	v_lshl_or_b32 v3, v88, 5, v82
	v_mul_u32_u24_e32 v3, 0x110, v3
	v_accvgpr_write_b32 a10, v3
	v_add_u32_e32 v3, 14, v8
	v_lshrrev_b32_e32 v207, 4, v3
	v_and_b32_e32 v84, 15, v3
	v_lshl_or_b32 v3, v207, 5, v84
	v_mul_u32_u24_e32 v3, 0x110, v3
	v_accvgpr_write_b32 a11, v3
	v_add_u32_e32 v3, 16, v8
	v_lshrrev_b32_e32 v90, 4, v3
	v_lshl_or_b32 v3, v90, 5, v70
	v_mul_u32_u24_e32 v3, 0x110, v3
	v_accvgpr_write_b32 a12, v3
	v_add_u32_e32 v3, 18, v8
	v_lshrrev_b32_e32 v205, 4, v3
	v_and_b32_e32 v86, 15, v3
	v_lshl_or_b32 v3, v205, 5, v86
	v_mul_u32_u24_e32 v3, 0x110, v3
	v_accvgpr_write_b32 a13, v3
	v_add_u32_e32 v3, 20, v8
	v_lshrrev_b32_e32 v4, 4, v3
	v_and_b32_e32 v6, 15, v3
	v_lshl_or_b32 v3, v4, 5, v6
	v_mul_u32_u24_e32 v3, 0x110, v3
	v_accvgpr_write_b32 a15, v3
	v_add_u32_e32 v3, 22, v8
	v_accvgpr_write_b32 a14, v4
	v_accvgpr_write_b32 a16, v6
	v_lshrrev_b32_e32 v4, 4, v3
	v_and_b32_e32 v6, 15, v3
	v_lshl_or_b32 v3, v4, 5, v6
	v_mul_u32_u24_e32 v3, 0x110, v3
	v_accvgpr_write_b32 a19, v3
	v_add_u32_e32 v3, 24, v8
	v_accvgpr_write_b32 a17, v4
	v_accvgpr_write_b32 a18, v6
	;; [unrolled: 8-line block ×4, first 2 shown]
	v_lshrrev_b32_e32 v4, 4, v3
	v_and_b32_e32 v6, 15, v3
	v_lshl_or_b32 v3, v4, 5, v6
	v_mul_u32_u24_e32 v3, 0x110, v3
	v_accvgpr_write_b32 a27, v3
	v_add_u32_e32 v3, 30, v8
	v_mul_lo_u32 v56, s34, v10
	v_accvgpr_write_b32 a26, v4
	v_accvgpr_write_b32 a28, v6
	v_lshrrev_b32_e32 v4, 4, v3
	v_and_b32_e32 v6, 15, v3
	v_add_u32_e32 v58, s8, v56
	v_lshl_or_b32 v3, v4, 5, v6
	v_readfirstlane_b32 s62, v5
	v_add_u32_e32 v60, s8, v58
	v_mul_u32_u24_e32 v3, 0x110, v3
	s_sub_i32 s11, 0, s89
	v_mul_u32_u24_e32 v12, 0x110, v10
	v_lshlrev_b32_e32 v54, 4, v32
	v_add_u32_e32 v62, s8, v60
	v_accvgpr_write_b32 a31, v3
	s_mul_i32 s11, s11, s62
	v_mov_b32_e32 v3, v37
	s_mov_b32 s10, 0x10001
	v_ashrrev_i32_e32 v41, 31, v40
	v_ashrrev_i32_e32 v43, 31, v42
	;; [unrolled: 1-line block ×4, first 2 shown]
	v_mul_lo_u32 v52, s38, v9
	v_add3_u32 v175, 0, v12, v54
	v_ashrrev_i32_e32 v57, 31, v56
	v_ashrrev_i32_e32 v59, 31, v58
	;; [unrolled: 1-line block ×4, first 2 shown]
	s_mul_hi_u32 s11, s62, s11
	v_lshl_add_u64 v[100:101], s[22:23], 0, v[2:3]
	s_lshl_b64 s[68:69], s[46:47], 1
	s_mov_b64 s[14:15], 0x100
	v_lshl_add_u64 v[2:3], s[18:19], 0, v[36:37]
	v_and_b32_e32 v225, 15, v83
	v_and_b32_e32 v227, 15, v81
	;; [unrolled: 1-line block ×6, first 2 shown]
	s_mul_i32 s59, s36, s37
	v_ashrrev_i32_e32 v39, 31, v38
	v_ashrrev_i32_e32 v53, 31, v52
	v_cmp_gt_u32_e64 s[6:7], 16, v30
	v_cmp_gt_u32_e64 s[8:9], 32, v30
	v_accvgpr_write_b32 a29, v4
	v_accvgpr_write_b32 a30, v6
	s_ashr_i32 s90, s83, 31
	s_ashr_i32 s91, s82, 31
	;; [unrolled: 1-line block ×3, first 2 shown]
	s_add_i32 s93, s62, s11
	v_mov_b32_e32 v55, v37
	s_lshl_b64 s[70:71], s[34:35], 8
	v_lshl_add_u64 v[102:103], v[2:3], 0, s[14:15]
	s_lshl_b64 s[72:73], s[38:39], 8
	s_mov_b32 s47, 0x3fb8aa3b
	s_mov_b32 s69, 0xc2ce8ed0
	;; [unrolled: 1-line block ×5, first 2 shown]
	s_movk_i32 s97, 0x47
	s_mov_b64 s[74:75], 0x80
	v_mul_lo_u32 v219, v85, s10
	v_add_u32_e32 v220, 0x1100, v175
	v_add_u32_e32 v221, 0x2200, v175
	v_add_u32_e32 v222, 0x3300, v175
	v_mul_u32_u24_e32 v223, 0x190, v71
	v_lshrrev_b32_e32 v224, 4, v83
	v_lshrrev_b32_e32 v226, 4, v81
	;; [unrolled: 1-line block ×7, first 2 shown]
	v_add_u32_e32 v237, 0xc80, v188
	v_add_u32_e32 v238, 0x1900, v188
	v_add_u32_e32 v239, 0x2580, v188
	v_bfe_u32 v240, v87, 5, 5
	v_accvgpr_write_b32 a8, v198
	v_mbcnt_hi_u32_b32 v241, -1, v198
	v_mov_b32_e32 v242, 0x7f800000
	v_lshlrev_b32_e32 v104, 2, v32
	v_mad_u64_u32 v[106:107], s[10:11], v49, s61, v[30:31]
	v_mad_u64_u32 v[108:109], s[10:11], v225, s61, v[30:31]
	;; [unrolled: 1-line block ×7, first 2 shown]
	v_lshl_add_u64 v[120:121], v[56:57], 2, s[20:21]
	v_lshl_add_u64 v[122:123], v[58:59], 2, s[20:21]
	;; [unrolled: 1-line block ×8, first 2 shown]
	s_branch .LBB0_12
.LBB0_10:                               ;   in Loop: Header=BB0_12 Depth=1
	s_or_b64 exec, exec, s[76:77]
	s_barrier
.LBB0_11:                               ;   in Loop: Header=BB0_12 Depth=1
	s_add_i32 s10, s56, s84
	s_abs_i32 s14, s10
	s_mul_hi_u32 s15, s14, s52
	s_mul_i32 s15, s15, s85
	s_sub_i32 s14, s14, s15
	s_ashr_i32 s11, s10, 31
	s_sub_i32 s15, s14, s85
	s_cmp_ge_u32 s14, s85
	s_cselect_b32 s14, s15, s14
	s_sub_i32 s15, s14, s85
	s_cmp_ge_u32 s14, s85
	s_cselect_b32 s14, s15, s14
	s_xor_b32 s14, s14, s11
	s_sub_i32 s11, s11, s14
	s_add_i32 s56, s10, s11
	s_sub_i32 s14, s60, s56
	s_min_i32 s98, s84, s14
	s_cmp_gt_i32 s60, s56
	s_cselect_b64 s[10:11], -1, 0
	s_cmp_le_i32 s84, s14
	s_cselect_b64 s[14:15], -1, 0
	s_and_b64 s[14:15], s[14:15], s[10:11]
	s_mov_b32 s76, 0
	s_and_b64 vcc, exec, s[14:15]
	s_cbranch_vccz .LBB0_307
.LBB0_12:                               ; =>This Loop Header: Depth=1
                                        ;     Child Loop BB0_214 Depth 2
                                        ;     Child Loop BB0_66 Depth 2
	s_abs_i32 s11, s56
	v_mul_hi_u32 v2, s11, v172
	v_mul_lo_u32 v3, v2, s86
	v_sub_u32_e32 v3, s11, v3
	v_add_u32_e32 v4, 1, v2
	v_subrev_u32_e32 v5, s86, v3
	v_cmp_le_u32_e32 vcc, s86, v3
	s_ashr_i32 s10, s56, 31
	s_xor_b32 s10, s10, s90
	v_cndmask_b32_e32 v2, v2, v4, vcc
	v_cndmask_b32_e32 v3, v3, v5, vcc
	v_add_u32_e32 v4, 1, v2
	v_cmp_le_u32_e32 vcc, s86, v3
	s_nop 1
	v_cndmask_b32_e32 v2, v2, v4, vcc
	v_xor_b32_e32 v2, s10, v2
	v_subrev_u32_e32 v2, s10, v2
	v_mul_lo_u32 v3, v2, s83
	v_sub_u32_e32 v4, s56, v3
	v_sub_u32_e32 v5, 0, v4
	v_max_i32_e32 v5, v4, v5
	v_mul_hi_u32 v6, v5, v173
	v_mul_lo_u32 v7, v6, s87
	v_sub_u32_e32 v5, v5, v7
	v_add_u32_e32 v7, 1, v6
	v_subrev_u32_e32 v8, s87, v5
	v_cmp_le_u32_e32 vcc, s87, v5
	v_ashrrev_i32_e32 v3, 31, v4
	v_xor_b32_e32 v3, s91, v3
	v_cndmask_b32_e32 v6, v6, v7, vcc
	v_cndmask_b32_e32 v5, v5, v8, vcc
	v_add_u32_e32 v7, 1, v6
	v_cmp_le_u32_e32 vcc, s87, v5
	s_nop 1
	v_cndmask_b32_e32 v5, v6, v7, vcc
	v_xor_b32_e32 v5, v5, v3
	v_sub_u32_e32 v3, v5, v3
	v_mul_lo_u32 v5, v3, s82
	v_sub_u32_e32 v5, v4, v5
	v_sub_u32_e32 v6, 0, v5
	v_max_i32_e32 v6, v5, v6
	v_mul_hi_u32 v7, v6, v174
	v_mul_lo_u32 v8, v7, s88
	v_sub_u32_e32 v6, v6, v8
	v_add_u32_e32 v8, 1, v7
	v_subrev_u32_e32 v9, s88, v6
	v_cmp_le_u32_e32 vcc, s88, v6
	v_ashrrev_i32_e32 v4, 31, v5
	v_xor_b32_e32 v4, s92, v4
	v_cndmask_b32_e32 v7, v7, v8, vcc
	v_cndmask_b32_e32 v6, v6, v9, vcc
	v_add_u32_e32 v8, 1, v7
	v_cmp_le_u32_e32 vcc, s88, v6
	s_nop 1
	v_cndmask_b32_e32 v6, v7, v8, vcc
	v_xor_b32_e32 v6, v6, v4
	v_sub_u32_e32 v4, v6, v4
	v_mul_lo_u32 v6, v4, s81
	v_sub_u32_e32 v5, v5, v6
	v_sub_u32_e32 v7, 0, v5
	v_ashrrev_i32_e32 v6, 31, v5
	v_max_i32_e32 v5, v5, v7
	v_mul_hi_u32 v7, v5, s52
	v_mul_lo_u32 v8, v7, s85
	v_sub_u32_e32 v5, v5, v8
	v_add_u32_e32 v8, 1, v7
	v_subrev_u32_e32 v9, s85, v5
	v_cmp_le_u32_e32 vcc, s85, v5
	v_xor_b32_e32 v6, s42, v6
	s_nop 0
	v_cndmask_b32_e32 v7, v7, v8, vcc
	v_cndmask_b32_e32 v5, v5, v9, vcc
	v_add_u32_e32 v8, 1, v7
	v_cmp_le_u32_e32 vcc, s85, v5
	s_nop 1
	v_cndmask_b32_e32 v5, v7, v8, vcc
	v_xor_b32_e32 v5, v5, v6
	s_andn2_b64 vcc, exec, s[66:67]
	v_sub_u32_e32 v111, v5, v6
	s_cbranch_vccnz .LBB0_14
; %bb.13:                               ;   in Loop: Header=BB0_12 Depth=1
	v_mul_lo_u32 v5, v2, s80
	v_add_u32_e32 v6, v111, v5
	v_ashrrev_i32_e32 v7, 31, v6
	v_lshlrev_b64 v[6:7], 2, v[6:7]
	v_lshl_add_u64 v[6:7], s[26:27], 0, v[6:7]
	global_load_dword v5, v[6:7], off
	s_waitcnt vmcnt(0)
	v_readfirstlane_b32 s10, v5
	s_ashr_i32 s11, s10, 31
	s_lshr_b32 s11, s11, 26
	s_add_i32 s10, s10, s11
	s_ashr_i32 s10, s10, 6
	s_min_i32 s98, s98, s10
.LBB0_14:                               ;   in Loop: Header=BB0_12 Depth=1
	v_mul_lo_u32 v5, v3, s3
	v_lshlrev_b32_e32 v107, 4, v4
	v_add_u32_e32 v4, v107, v5
	v_mul_lo_u32 v6, v2, s55
	v_ashrrev_i32_e32 v7, 31, v6
	v_mul_lo_u32 v8, v4, s54
	v_lshl_add_u64 v[6:7], s[16:17], 0, v[6:7]
	v_ashrrev_i32_e32 v9, 31, v8
	v_ashrrev_i32_e32 v5, 31, v2
	v_lshl_add_u64 v[152:153], v[6:7], 0, v[8:9]
	v_mul_hi_u32 v6, s40, v2
	v_mul_lo_u32 v7, s40, v5
	v_add_u32_e32 v6, v6, v7
	v_mul_lo_u32 v7, s41, v2
	v_add_u32_e32 v147, v6, v7
	v_mul_lo_u32 v146, s40, v2
	v_mul_lo_u32 v148, v3, s53
	v_lshl_add_u64 v[6:7], s[18:19], 0, v[146:147]
	v_ashrrev_i32_e32 v149, 31, v148
	v_lshl_add_u64 v[142:143], v[6:7], 0, v[148:149]
	v_sub_u32_e32 v6, 0, v2
	v_max_i32_e32 v6, v2, v6
	v_mul_hi_u32 v7, v6, s93
	v_mul_lo_u32 v7, v7, s89
	v_sub_u32_e32 v6, v6, v7
	v_subrev_u32_e32 v7, s89, v6
	v_cmp_le_u32_e32 vcc, s89, v6
	v_mul_lo_u32 v154, s48, v2
	v_mul_lo_u32 v156, v3, s43
	v_cndmask_b32_e32 v6, v6, v7, vcc
	v_subrev_u32_e32 v7, s89, v6
	v_cmp_le_u32_e32 vcc, s89, v6
	v_ashrrev_i32_e32 v157, 31, v156
	v_lshlrev_b32_e32 v109, 1, v111
	v_cndmask_b32_e32 v6, v6, v7, vcc
	v_xor_b32_e32 v6, v6, v5
	v_sub_u32_e32 v6, v6, v5
	v_ashrrev_i32_e32 v7, 31, v6
	v_mul_lo_u32 v7, s50, v7
	v_mul_hi_u32 v8, s50, v6
	v_add_u32_e32 v7, v8, v7
	v_mul_lo_u32 v8, s51, v6
	v_mul_lo_u32 v150, s50, v6
	;; [unrolled: 1-line block ×3, first 2 shown]
	v_add_u32_e32 v6, v4, v6
	v_lshlrev_b32_e32 v36, 6, v6
	v_add_u32_e32 v151, v7, v8
	v_lshlrev_b64 v[6:7], 3, v[36:37]
	v_lshl_add_u64 v[136:137], s[28:29], 0, v[6:7]
	v_mul_hi_u32 v6, s48, v2
	v_mul_lo_u32 v5, s48, v5
	v_add_u32_e32 v5, v6, v5
	v_mul_lo_u32 v6, s49, v2
	v_add_u32_e32 v155, v5, v6
	v_ashrrev_i32_e32 v5, 31, v4
	v_lshlrev_b64 v[2:3], 2, v[4:5]
	v_lshl_add_u64 v[2:3], s[24:25], 0, v[2:3]
	v_lshl_add_u64 v[6:7], s[20:21], 0, v[154:155]
	v_cndmask_b32_e64 v138, v2, 0, s[64:65]
	v_bfe_u32 v2, v87, 4, 6
	v_lshl_add_u64 v[144:145], s[22:23], 0, v[150:151]
	v_lshl_add_u64 v[140:141], v[6:7], 0, v[156:157]
	v_cndmask_b32_e64 v139, v3, 0, s[64:65]
	s_cmp_lg_u32 s76, 0
	v_add_u32_e32 v113, v2, v109
	v_or_b32_e32 v115, v49, v107
	s_cbranch_scc0 .LBB0_68
; %bb.15:                               ;   in Loop: Header=BB0_12 Depth=1
	v_cmp_le_i32_e64 s[10:11], s36, v113
	v_cmp_le_i32_e64 s[14:15], s3, v115
	v_cmp_gt_i32_e32 vcc, s3, v115
	s_or_b64 s[10:11], s[10:11], s[14:15]
	s_and_saveexec_b64 s[14:15], s[10:11]
	s_xor_b64 s[10:11], exec, s[14:15]
; %bb.16:                               ;   in Loop: Header=BB0_12 Depth=1
	v_add_u32_e32 v2, v89, v223
	ds_write_b32 v2, v37
; %bb.17:                               ;   in Loop: Header=BB0_12 Depth=1
	s_andn2_saveexec_b64 s[10:11], s[10:11]
	s_cbranch_execz .LBB0_19
; %bb.18:                               ;   in Loop: Header=BB0_12 Depth=1
	v_mad_u64_u32 v[2:3], s[14:15], v113, s57, v[106:107]
	v_ashrrev_i32_e32 v3, 31, v2
	v_lshl_add_u64 v[2:3], v[2:3], 3, v[152:153]
	global_load_dwordx2 v[2:3], v[2:3], off
	s_waitcnt vmcnt(0)
	v_cvt_pk_f16_f32 v2, v2, v3
	v_pk_mul_f16 v2, v2, v219
	v_add_u32_e32 v3, v89, v223
	ds_write_b32 v3, v2
.LBB0_19:                               ;   in Loop: Header=BB0_12 Depth=1
	s_or_b64 exec, exec, s[10:11]
	v_add_u32_e32 v2, v224, v109
	v_or_b32_e32 v3, v225, v107
	v_cmp_le_i32_e64 s[10:11], s36, v2
	v_cmp_le_i32_e64 s[14:15], s3, v3
	s_or_b64 s[10:11], s[10:11], s[14:15]
	s_and_saveexec_b64 s[14:15], s[10:11]
	s_xor_b64 s[10:11], exec, s[14:15]
; %bb.20:                               ;   in Loop: Header=BB0_12 Depth=1
	v_add_u32_e32 v2, v89, v223
	ds_write_b32 v2, v37 offset:1600
                                        ; implicit-def: $vgpr2
; %bb.21:                               ;   in Loop: Header=BB0_12 Depth=1
	s_andn2_saveexec_b64 s[10:11], s[10:11]
	s_cbranch_execz .LBB0_23
; %bb.22:                               ;   in Loop: Header=BB0_12 Depth=1
	v_mad_u64_u32 v[2:3], s[14:15], v2, s57, v[108:109]
	v_ashrrev_i32_e32 v3, 31, v2
	v_lshl_add_u64 v[2:3], v[2:3], 3, v[152:153]
	global_load_dwordx2 v[2:3], v[2:3], off
	s_waitcnt vmcnt(0)
	v_cvt_pk_f16_f32 v2, v2, v3
	v_pk_mul_f16 v2, v2, v219
	v_add_u32_e32 v3, v89, v223
	ds_write_b32 v3, v2 offset:1600
.LBB0_23:                               ;   in Loop: Header=BB0_12 Depth=1
	s_or_b64 exec, exec, s[10:11]
	v_add_u32_e32 v2, v226, v109
	v_or_b32_e32 v3, v227, v107
	v_cmp_le_i32_e64 s[10:11], s36, v2
	v_cmp_le_i32_e64 s[14:15], s3, v3
	s_or_b64 s[10:11], s[10:11], s[14:15]
	s_and_saveexec_b64 s[14:15], s[10:11]
	s_xor_b64 s[10:11], exec, s[14:15]
; %bb.24:                               ;   in Loop: Header=BB0_12 Depth=1
	v_add_u32_e32 v2, v89, v223
	ds_write_b32 v2, v37 offset:3200
                                        ; implicit-def: $vgpr2
; %bb.25:                               ;   in Loop: Header=BB0_12 Depth=1
	s_andn2_saveexec_b64 s[10:11], s[10:11]
	s_cbranch_execz .LBB0_27
; %bb.26:                               ;   in Loop: Header=BB0_12 Depth=1
	v_mad_u64_u32 v[2:3], s[14:15], v2, s57, v[110:111]
	v_ashrrev_i32_e32 v3, 31, v2
	v_lshl_add_u64 v[2:3], v[2:3], 3, v[152:153]
	global_load_dwordx2 v[2:3], v[2:3], off
	s_waitcnt vmcnt(0)
	v_cvt_pk_f16_f32 v2, v2, v3
	v_pk_mul_f16 v2, v2, v219
	v_add_u32_e32 v3, v89, v223
	ds_write_b32 v3, v2 offset:3200
.LBB0_27:                               ;   in Loop: Header=BB0_12 Depth=1
	;; [unrolled: 26-line block ×3, first 2 shown]
	s_or_b64 exec, exec, s[10:11]
	v_add_u32_e32 v2, v230, v109
	v_cmp_le_i32_e64 s[10:11], s36, v2
	s_xor_b64 s[14:15], vcc, -1
	s_or_b64 s[10:11], s[10:11], s[14:15]
	s_and_saveexec_b64 s[14:15], s[10:11]
	s_xor_b64 s[10:11], exec, s[14:15]
; %bb.32:                               ;   in Loop: Header=BB0_12 Depth=1
	v_add_u32_e32 v2, v89, v223
	ds_write_b32 v2, v37 offset:6400
                                        ; implicit-def: $vgpr2
; %bb.33:                               ;   in Loop: Header=BB0_12 Depth=1
	s_andn2_saveexec_b64 s[10:11], s[10:11]
	s_cbranch_execz .LBB0_35
; %bb.34:                               ;   in Loop: Header=BB0_12 Depth=1
	v_mad_u64_u32 v[2:3], s[14:15], v2, s57, v[106:107]
	v_ashrrev_i32_e32 v3, 31, v2
	v_lshl_add_u64 v[2:3], v[2:3], 3, v[152:153]
	global_load_dwordx2 v[2:3], v[2:3], off
	s_waitcnt vmcnt(0)
	v_cvt_pk_f16_f32 v2, v2, v3
	v_pk_mul_f16 v2, v2, v219
	v_add_u32_e32 v3, v89, v223
	ds_write_b32 v3, v2 offset:6400
.LBB0_35:                               ;   in Loop: Header=BB0_12 Depth=1
	s_or_b64 exec, exec, s[10:11]
	v_add_u32_e32 v2, v231, v109
	v_or_b32_e32 v3, v232, v107
	v_cmp_le_i32_e32 vcc, s36, v2
	v_cmp_le_i32_e64 s[10:11], s3, v3
	s_or_b64 s[10:11], vcc, s[10:11]
	s_and_saveexec_b64 s[14:15], s[10:11]
	s_xor_b64 s[10:11], exec, s[14:15]
; %bb.36:                               ;   in Loop: Header=BB0_12 Depth=1
	v_add_u32_e32 v2, v89, v223
	ds_write_b32 v2, v37 offset:8000
                                        ; implicit-def: $vgpr2
; %bb.37:                               ;   in Loop: Header=BB0_12 Depth=1
	s_andn2_saveexec_b64 s[10:11], s[10:11]
	s_cbranch_execz .LBB0_39
; %bb.38:                               ;   in Loop: Header=BB0_12 Depth=1
	v_mad_u64_u32 v[2:3], s[14:15], v2, s57, v[114:115]
	v_ashrrev_i32_e32 v3, 31, v2
	v_lshl_add_u64 v[2:3], v[2:3], 3, v[152:153]
	global_load_dwordx2 v[2:3], v[2:3], off
	s_waitcnt vmcnt(0)
	v_cvt_pk_f16_f32 v2, v2, v3
	v_pk_mul_f16 v2, v2, v219
	v_add_u32_e32 v3, v89, v223
	ds_write_b32 v3, v2 offset:8000
.LBB0_39:                               ;   in Loop: Header=BB0_12 Depth=1
	s_or_b64 exec, exec, s[10:11]
	v_add_u32_e32 v2, v233, v109
	v_or_b32_e32 v3, v234, v107
	v_cmp_le_i32_e32 vcc, s36, v2
	v_cmp_le_i32_e64 s[10:11], s3, v3
	s_or_b64 s[10:11], vcc, s[10:11]
	;; [unrolled: 26-line block ×3, first 2 shown]
	s_and_saveexec_b64 s[14:15], s[10:11]
	s_xor_b64 s[10:11], exec, s[14:15]
; %bb.44:                               ;   in Loop: Header=BB0_12 Depth=1
	v_add_u32_e32 v2, v89, v223
	ds_write_b32 v2, v37 offset:11200
                                        ; implicit-def: $vgpr2
; %bb.45:                               ;   in Loop: Header=BB0_12 Depth=1
	s_andn2_saveexec_b64 s[10:11], s[10:11]
	s_cbranch_execz .LBB0_47
; %bb.46:                               ;   in Loop: Header=BB0_12 Depth=1
	v_mad_u64_u32 v[2:3], s[14:15], v2, s57, v[118:119]
	v_ashrrev_i32_e32 v3, 31, v2
	v_lshl_add_u64 v[2:3], v[2:3], 3, v[152:153]
	global_load_dwordx2 v[2:3], v[2:3], off
	s_waitcnt vmcnt(0)
	v_cvt_pk_f16_f32 v2, v2, v3
	v_pk_mul_f16 v2, v2, v219
	v_add_u32_e32 v3, v89, v223
	ds_write_b32 v3, v2 offset:11200
.LBB0_47:                               ;   in Loop: Header=BB0_12 Depth=1
	s_or_b64 exec, exec, s[10:11]
	v_add_u32_e32 v2, v185, v109
	v_or_b32_e32 v3, v186, v107
	v_cmp_le_i32_e64 s[10:11], s36, v2
	v_cmp_le_i32_e64 s[14:15], s3, v3
	v_cmp_gt_i32_e32 vcc, s3, v3
	s_or_b64 s[10:11], s[10:11], s[14:15]
	s_and_saveexec_b64 s[14:15], s[10:11]
	s_xor_b64 s[10:11], exec, s[14:15]
; %bb.48:                               ;   in Loop: Header=BB0_12 Depth=1
	ds_write_b32 v188, v37 offset:256
                                        ; implicit-def: $vgpr2
; %bb.49:                               ;   in Loop: Header=BB0_12 Depth=1
	s_andn2_saveexec_b64 s[10:11], s[10:11]
	s_cbranch_execz .LBB0_51
; %bb.50:                               ;   in Loop: Header=BB0_12 Depth=1
	v_mad_u64_u32 v[2:3], s[14:15], v2, s57, v[64:65]
	v_ashrrev_i32_e32 v3, 31, v2
	v_lshl_add_u64 v[2:3], v[2:3], 3, v[152:153]
	global_load_dwordx2 v[2:3], v[2:3], off
	s_waitcnt vmcnt(0)
	v_cvt_pk_f16_f32 v2, v2, v3
	v_pk_mul_f16 v2, v2, v219
	v_add_u32_e32 v3, v184, v187
	ds_write_b32 v3, v2 offset:256
.LBB0_51:                               ;   in Loop: Header=BB0_12 Depth=1
	s_or_b64 exec, exec, s[10:11]
	v_add_u32_e32 v2, v181, v109
	v_or_b32_e32 v3, v182, v107
	v_cmp_le_i32_e64 s[10:11], s36, v2
	v_cmp_le_i32_e64 s[14:15], s3, v3
	s_or_b64 s[10:11], s[10:11], s[14:15]
	s_and_saveexec_b64 s[14:15], s[10:11]
	s_xor_b64 s[10:11], exec, s[14:15]
; %bb.52:                               ;   in Loop: Header=BB0_12 Depth=1
	ds_write_b32 v237, v37 offset:256
                                        ; implicit-def: $vgpr2
; %bb.53:                               ;   in Loop: Header=BB0_12 Depth=1
	s_andn2_saveexec_b64 s[10:11], s[10:11]
	s_cbranch_execz .LBB0_55
; %bb.54:                               ;   in Loop: Header=BB0_12 Depth=1
	v_mad_u64_u32 v[2:3], s[14:15], v2, s57, v[66:67]
	v_ashrrev_i32_e32 v3, 31, v2
	v_lshl_add_u64 v[2:3], v[2:3], 3, v[152:153]
	global_load_dwordx2 v[2:3], v[2:3], off
	s_waitcnt vmcnt(0)
	v_cvt_pk_f16_f32 v2, v2, v3
	v_pk_mul_f16 v2, v2, v219
	v_add_u32_e32 v3, v184, v187
	ds_write_b32 v3, v2 offset:3456
.LBB0_55:                               ;   in Loop: Header=BB0_12 Depth=1
	s_or_b64 exec, exec, s[10:11]
	v_add_u32_e32 v2, v183, v109
	v_cmp_le_i32_e64 s[10:11], s36, v2
	s_xor_b64 s[14:15], vcc, -1
	s_or_b64 s[10:11], s[10:11], s[14:15]
	s_and_saveexec_b64 s[14:15], s[10:11]
	s_xor_b64 s[10:11], exec, s[14:15]
; %bb.56:                               ;   in Loop: Header=BB0_12 Depth=1
	ds_write_b32 v238, v37 offset:256
                                        ; implicit-def: $vgpr2
; %bb.57:                               ;   in Loop: Header=BB0_12 Depth=1
	s_andn2_saveexec_b64 s[10:11], s[10:11]
	s_cbranch_execz .LBB0_59
; %bb.58:                               ;   in Loop: Header=BB0_12 Depth=1
	v_mad_u64_u32 v[2:3], s[14:15], v2, s57, v[64:65]
	v_ashrrev_i32_e32 v3, 31, v2
	v_lshl_add_u64 v[2:3], v[2:3], 3, v[152:153]
	global_load_dwordx2 v[2:3], v[2:3], off
	s_waitcnt vmcnt(0)
	v_cvt_pk_f16_f32 v2, v2, v3
	v_pk_mul_f16 v2, v2, v219
	v_add_u32_e32 v3, v184, v187
	ds_write_b32 v3, v2 offset:6656
.LBB0_59:                               ;   in Loop: Header=BB0_12 Depth=1
	s_or_b64 exec, exec, s[10:11]
	v_add_u32_e32 v2, v189, v109
	v_or_b32_e32 v3, v190, v107
	v_cmp_le_i32_e32 vcc, s36, v2
	v_cmp_le_i32_e64 s[10:11], s3, v3
	s_or_b64 s[10:11], vcc, s[10:11]
	s_and_saveexec_b64 s[14:15], s[10:11]
	s_xor_b64 s[10:11], exec, s[14:15]
; %bb.60:                               ;   in Loop: Header=BB0_12 Depth=1
	ds_write_b32 v239, v37 offset:256
                                        ; implicit-def: $vgpr2
; %bb.61:                               ;   in Loop: Header=BB0_12 Depth=1
	s_andn2_saveexec_b64 s[10:11], s[10:11]
	s_cbranch_execz .LBB0_63
; %bb.62:                               ;   in Loop: Header=BB0_12 Depth=1
	v_mad_u64_u32 v[2:3], s[14:15], v2, s57, v[68:69]
	v_ashrrev_i32_e32 v3, 31, v2
	v_lshl_add_u64 v[2:3], v[2:3], 3, v[152:153]
	global_load_dwordx2 v[2:3], v[2:3], off
	s_waitcnt vmcnt(0)
	v_cvt_pk_f16_f32 v2, v2, v3
	v_pk_mul_f16 v2, v2, v219
	v_add_u32_e32 v3, v184, v187
	ds_write_b32 v3, v2 offset:9856
.LBB0_63:                               ;   in Loop: Header=BB0_12 Depth=1
	s_or_b64 exec, exec, s[10:11]
	s_waitcnt lgkmcnt(0)
	s_barrier
	ds_read2_b64 v[14:17], v93 offset1:4
	ds_read2_b64 v[10:13], v93 offset0:8 offset1:12
	ds_read2_b64 v[6:9], v93 offset0:16 offset1:20
	;; [unrolled: 1-line block ×5, first 2 shown]
	s_add_i32 s62, s98, -1
	s_cmp_ge_i32 s76, s62
	s_waitcnt lgkmcnt(0)
	s_barrier
	s_cbranch_scc1 .LBB0_69
; %bb.64:                               ;   in Loop: Header=BB0_12 Depth=1
	v_add_u32_e32 v26, v111, v71
	v_lshl_add_u32 v26, v26, 1, v91
	v_mul_hi_u32 v27, s44, v26
	v_add_u32_e32 v27, v26, v27
	v_lshrrev_b32_e32 v27, s45, v27
	v_mul_lo_u32 v27, v27, s36
	v_sub_u32_e32 v26, v26, v27
	v_mad_i64_i32 v[26:27], s[10:11], v26, s46, 0
	v_lshl_add_u64 v[26:27], v[26:27], 1, v[144:145]
	v_lshlrev_b32_e32 v36, 1, v34
	v_lshl_add_u64 v[158:159], v[26:27], 0, v[36:37]
	v_and_b32_e32 v26, 64, v241
	v_add_u32_e32 v26, 64, v26
	v_xor_b32_e32 v27, 32, v241
	v_cmp_lt_i32_e32 vcc, v27, v26
	s_lshl_b32 s10, s76, 6
	v_mov_b32_e32 v162, 0
	v_cndmask_b32_e32 v27, v241, v27, vcc
	v_lshlrev_b32_e32 v160, 2, v27
	v_xor_b32_e32 v27, 16, v241
	v_cmp_lt_i32_e32 vcc, v27, v26
	v_mov_b32_e32 v94, 0xfeffffff
	v_mov_b32_e32 v92, 0
	v_cndmask_b32_e32 v26, v241, v27, vcc
	v_lshlrev_b32_e32 v161, 2, v26
	v_mov_b32_e32 v198, 0
	v_mov_b32_e32 v164, 0
	;; [unrolled: 1-line block ×15, first 2 shown]
	s_ashr_i32 s11, s10, 31
	s_and_saveexec_b64 s[14:15], s[0:1]
	s_cbranch_execz .LBB0_66
.LBB0_65:                               ;   in Loop: Header=BB0_12 Depth=1
	v_lshl_add_u64 v[208:209], s[10:11], 1, v[158:159]
	global_load_dword v36, v[208:209], off
	s_waitcnt vmcnt(0)
	ds_write_b32 v95, v36 offset:17408
.LBB0_66:                               ;   Parent Loop BB0_12 Depth=1
                                        ; =>  This Inner Loop Header: Depth=2
	s_or_b64 exec, exec, s[14:15]
	s_mul_hi_i32 s15, s10, s38
	s_mul_i32 s14, s10, s38
	s_lshl_b64 s[14:15], s[14:15], 2
	v_lshl_add_u64 v[208:209], v[142:143], 0, s[14:15]
	v_lshl_add_u64 v[210:211], v[52:53], 2, v[208:209]
	v_lshlrev_b32_e32 v36, 2, v48
	v_lshl_add_u64 v[210:211], v[210:211], 0, v[36:37]
	global_load_dwordx4 v[210:213], v[210:211], off offset:256
	v_add_u32_e32 v96, 0x2000, v166
	s_mul_hi_i32 s15, s10, s34
	s_mul_i32 s14, s10, s34
	s_lshl_b64 s[14:15], s[14:15], 2
	s_add_i32 s76, s76, 1
	s_add_i32 s10, s10, 64
	s_cmp_lt_i32 s76, s62
	s_waitcnt vmcnt(0)
	ds_write_b128 v97, v[210:213]
	v_lshl_add_u64 v[210:211], v[38:39], 2, v[208:209]
	v_lshl_add_u64 v[210:211], v[210:211], 0, v[36:37]
	global_load_dwordx4 v[210:213], v[210:211], off offset:256
	v_lshlrev_b32_e32 v36, 2, v104
	s_waitcnt vmcnt(0)
	ds_write_b128 v99, v[210:213]
	s_waitcnt lgkmcnt(0)
	s_barrier
	ds_read2_b64 v[210:213], v166 offset1:4
	s_waitcnt lgkmcnt(0)
	v_mfma_f32_16x16x16_f16 a[0:3], v[210:211], v[22:23], 0
	v_mfma_f32_16x16x16_f16 a[0:3], v[212:213], v[24:25], a[0:3]
	ds_read2_b64 v[210:213], v166 offset0:8 offset1:12
	s_waitcnt lgkmcnt(0)
	v_mfma_f32_16x16x16_f16 a[0:3], v[210:211], v[18:19], a[0:3]
	v_mfma_f32_16x16x16_f16 a[0:3], v[212:213], v[20:21], a[0:3]
	ds_read2_b64 v[210:213], v96 offset0:64 offset1:68
	;; [unrolled: 4-line block ×3, first 2 shown]
	s_waitcnt lgkmcnt(0)
	s_barrier
	v_mfma_f32_16x16x16_f16 a[4:7], v[210:211], v[18:19], a[4:7]
	v_lshl_add_u64 v[210:211], v[40:41], 2, v[208:209]
	v_lshl_add_u64 v[210:211], v[210:211], 0, v[36:37]
	v_mfma_f32_16x16x16_f16 a[4:7], v[212:213], v[20:21], a[4:7]
	global_load_dwordx4 v[210:213], v[210:211], off
	s_waitcnt vmcnt(0)
	ds_write_b128 v175, v[210:213]
	v_lshl_add_u64 v[210:211], v[42:43], 2, v[208:209]
	v_lshl_add_u64 v[210:211], v[210:211], 0, v[36:37]
	global_load_dwordx4 v[210:213], v[210:211], off
	s_waitcnt vmcnt(0)
	ds_write_b128 v220, v[210:213]
	v_lshl_add_u64 v[210:211], v[44:45], 2, v[208:209]
	v_lshl_add_u64 v[210:211], v[210:211], 0, v[36:37]
	global_load_dwordx4 v[210:213], v[210:211], off
	v_lshl_add_u64 v[208:209], v[46:47], 2, v[208:209]
	v_lshl_add_u64 v[208:209], v[208:209], 0, v[36:37]
	s_waitcnt vmcnt(0)
	ds_write_b128 v221, v[210:213]
	global_load_dwordx4 v[210:213], v[208:209], off
	s_waitcnt vmcnt(0)
	ds_write_b128 v222, v[210:213]
	s_waitcnt lgkmcnt(0)
	s_barrier
	ds_read2_b64 v[210:213], v166 offset1:4
	s_waitcnt lgkmcnt(0)
	v_mfma_f32_16x16x16_f16 a[0:3], v[210:211], v[14:15], a[0:3]
	v_mfma_f32_16x16x16_f16 a[0:3], v[212:213], v[16:17], a[0:3]
	ds_read2_b64 v[210:213], v166 offset0:8 offset1:12
	s_waitcnt lgkmcnt(0)
	v_mfma_f32_16x16x16_f16 a[0:3], v[210:211], v[10:11], a[0:3]
	v_mfma_f32_16x16x16_f16 a[0:3], v[212:213], v[12:13], a[0:3]
	ds_read2_b64 v[210:213], v166 offset0:16 offset1:20
	s_waitcnt lgkmcnt(0)
	v_mfma_f32_16x16x16_f16 a[0:3], v[210:211], v[6:7], a[0:3]
	v_mfma_f32_16x16x16_f16 a[0:3], v[212:213], v[8:9], a[0:3]
	ds_read2_b64 v[210:213], v166 offset0:24 offset1:28
	s_waitcnt lgkmcnt(0)
	v_mfma_f32_16x16x16_f16 a[0:3], v[210:211], v[2:3], a[0:3]
	v_mfma_f32_16x16x16_f16 a[0:3], v[212:213], v[4:5], a[0:3]
	ds_read2_b64 v[210:213], v96 offset0:64 offset1:68
	s_waitcnt lgkmcnt(0)
	v_mfma_f32_16x16x16_f16 a[4:7], v[210:211], v[14:15], a[4:7]
	s_nop 4
	v_accvgpr_read_b32 v117, a0
	v_accvgpr_read_b32 v199, a2
	v_mfma_f32_16x16x16_f16 a[4:7], v[212:213], v[16:17], a[4:7]
	ds_read2_b64 v[210:213], v96 offset0:72 offset1:76
	s_waitcnt lgkmcnt(0)
	v_mfma_f32_16x16x16_f16 a[4:7], v[210:211], v[10:11], a[4:7]
	v_mfma_f32_16x16x16_f16 a[4:7], v[212:213], v[12:13], a[4:7]
	ds_read2_b64 v[210:213], v96 offset0:80 offset1:84
	s_waitcnt lgkmcnt(0)
	v_mfma_f32_16x16x16_f16 a[4:7], v[210:211], v[6:7], a[4:7]
	v_mfma_f32_16x16x16_f16 a[4:7], v[212:213], v[8:9], a[4:7]
	ds_read2_b64 v[210:213], v96 offset0:88 offset1:92
	v_add_u32_e32 v96, 0x4400, v167
	s_waitcnt lgkmcnt(0)
	s_barrier
	ds_read2_b32 v[208:209], v96 offset1:1
	v_mfma_f32_16x16x16_f16 a[4:7], v[210:211], v[2:3], a[4:7]
	s_waitcnt lgkmcnt(0)
	v_cvt_f32_f16_e32 v96, v208
	v_cvt_f32_f16_sdwa v98, v208 dst_sel:DWORD dst_unused:UNUSED_PAD src0_sel:WORD_1
	v_cvt_f32_f16_sdwa v119, v209 dst_sel:DWORD dst_unused:UNUSED_PAD src0_sel:WORD_1
	v_mfma_f32_16x16x16_f16 a[4:7], v[212:213], v[4:5], a[4:7]
	v_add_f32_e32 v96, v117, v96
	v_accvgpr_read_b32 v117, a1
	v_add_f32_e32 v98, v117, v98
	v_cvt_f32_f16_e32 v117, v209
	v_add_f32_e32 v199, v199, v117
	v_accvgpr_read_b32 v117, a3
	v_add_f32_e32 v119, v117, v119
	ds_read_b32 v117, v176 offset:17408
	v_accvgpr_read_b32 v203, a4
	v_accvgpr_read_b32 v206, a6
	s_waitcnt lgkmcnt(0)
	v_cvt_f32_f16_e32 v201, v117
	v_cvt_f32_f16_sdwa v117, v117 dst_sel:DWORD dst_unused:UNUSED_PAD src0_sel:WORD_1
	v_add_f32_e32 v201, v203, v201
	v_accvgpr_read_b32 v203, a5
	v_add_f32_e32 v203, v203, v117
	ds_read_b32 v117, v177 offset:17408
	s_waitcnt lgkmcnt(0)
	v_cvt_f32_f16_e32 v204, v117
	v_cvt_f32_f16_sdwa v117, v117 dst_sel:DWORD dst_unused:UNUSED_PAD src0_sel:WORD_1
	v_add_f32_e32 v209, v206, v204
	v_accvgpr_read_b32 v204, a7
	v_add_f32_e32 v211, v204, v117
	v_add_f32_e32 v117, 0x40051340, v96
	;; [unrolled: 1-line block ×3, first 2 shown]
	v_max3_f32 v117, v94, v117, v204
	v_add_f32_e32 v204, 0x40051340, v199
	v_add_f32_e32 v206, 0x40051340, v119
	v_max3_f32 v117, v117, v204, v206
	v_add_f32_e32 v204, 0x40051340, v201
	v_add_f32_e32 v206, 0x40051340, v203
	;; [unrolled: 3-line block ×3, first 2 shown]
	v_max3_f32 v117, v117, v204, v206
	ds_bpermute_b32 v204, v160, v117
	s_waitcnt lgkmcnt(0)
	v_max_f32_e32 v204, v204, v204
	v_max_f32_e32 v117, v117, v204
	ds_bpermute_b32 v204, v161, v117
	s_waitcnt lgkmcnt(0)
	v_max_f32_e32 v204, v204, v204
	v_max_f32_e32 v117, v117, v204
	v_sub_f32_e32 v96, v96, v117
	v_mul_f32_e32 v204, 0x3fb8aa3b, v96
	v_fma_f32 v206, v96, s47, -v204
	v_rndne_f32_e32 v208, v204
	v_fmac_f32_e32 v206, 0x32a5705f, v96
	v_sub_f32_e32 v204, v204, v208
	v_add_f32_e32 v204, v204, v206
	v_exp_f32_e32 v204, v204
	v_cvt_i32_f32_e32 v206, v208
	v_cmp_ngt_f32_e32 vcc, s69, v96
	v_sub_f32_e32 v94, v94, v117
	v_ldexp_f32 v204, v204, v206
	v_cndmask_b32_e32 v204, 0, v204, vcc
	v_cmp_nlt_f32_e32 vcc, s94, v96
	v_sub_f32_e32 v96, v98, v117
	v_mul_f32_e32 v98, 0x3fb8aa3b, v96
	v_cndmask_b32_e32 v249, v242, v204, vcc
	v_fma_f32 v204, v96, s47, -v98
	v_rndne_f32_e32 v206, v98
	v_fmac_f32_e32 v204, 0x32a5705f, v96
	v_sub_f32_e32 v98, v98, v206
	v_add_f32_e32 v98, v98, v204
	v_exp_f32_e32 v98, v98
	v_cvt_i32_f32_e32 v204, v206
	v_cmp_ngt_f32_e32 vcc, s69, v96
	v_ldexp_f32 v98, v98, v204
	s_nop 0
	v_cndmask_b32_e32 v98, 0, v98, vcc
	v_cmp_nlt_f32_e32 vcc, s94, v96
	s_nop 1
	v_cndmask_b32_e32 v250, v242, v98, vcc
	v_sub_f32_e32 v98, v199, v117
	v_mul_f32_e32 v199, 0x3fb8aa3b, v98
	v_fma_f32 v204, v98, s47, -v199
	v_rndne_f32_e32 v206, v199
	v_fmac_f32_e32 v204, 0x32a5705f, v98
	v_sub_f32_e32 v199, v199, v206
	v_add_f32_e32 v199, v199, v204
	v_exp_f32_e32 v199, v199
	v_cvt_i32_f32_e32 v204, v206
	v_cmp_ngt_f32_e32 vcc, s69, v98
	v_add_f32_e32 v96, v249, v250
	v_ldexp_f32 v199, v199, v204
	v_cndmask_b32_e32 v199, 0, v199, vcc
	v_cmp_nlt_f32_e32 vcc, s94, v98
	v_sub_f32_e32 v98, v119, v117
	v_mul_f32_e32 v119, 0x3fb8aa3b, v98
	v_cndmask_b32_e32 v204, v242, v199, vcc
	v_fma_f32 v199, v98, s47, -v119
	v_rndne_f32_e32 v206, v119
	v_fmac_f32_e32 v199, 0x32a5705f, v98
	v_sub_f32_e32 v119, v119, v206
	v_add_f32_e32 v119, v119, v199
	v_exp_f32_e32 v119, v119
	v_cvt_i32_f32_e32 v199, v206
	v_cmp_ngt_f32_e32 vcc, s69, v98
	v_add_f32_e32 v96, v204, v96
	v_ldexp_f32 v119, v119, v199
	v_cndmask_b32_e32 v119, 0, v119, vcc
	v_cmp_nlt_f32_e32 vcc, s94, v98
	v_sub_f32_e32 v98, v201, v117
	s_nop 0
	v_cndmask_b32_e32 v208, v242, v119, vcc
	v_mul_f32_e32 v119, 0x3fb8aa3b, v98
	v_fma_f32 v199, v98, s47, -v119
	v_rndne_f32_e32 v201, v119
	v_fmac_f32_e32 v199, 0x32a5705f, v98
	v_sub_f32_e32 v119, v119, v201
	v_add_f32_e32 v119, v119, v199
	v_exp_f32_e32 v119, v119
	v_cvt_i32_f32_e32 v199, v201
	v_cmp_ngt_f32_e32 vcc, s69, v98
	v_add_f32_e32 v96, v208, v96
	v_ldexp_f32 v119, v119, v199
	v_cndmask_b32_e32 v119, 0, v119, vcc
	v_cmp_nlt_f32_e32 vcc, s94, v98
	v_sub_f32_e32 v98, v203, v117
	s_nop 0
	v_cndmask_b32_e32 v206, v242, v119, vcc
	v_mul_f32_e32 v119, 0x3fb8aa3b, v98
	;; [unrolled: 16-line block ×4, first 2 shown]
	v_fma_f32 v199, v98, s47, -v119
	v_rndne_f32_e32 v201, v119
	v_fmac_f32_e32 v199, 0x32a5705f, v98
	v_sub_f32_e32 v119, v119, v201
	v_add_f32_e32 v119, v119, v199
	v_exp_f32_e32 v119, v119
	v_cvt_i32_f32_e32 v199, v201
	v_cmp_ngt_f32_e32 vcc, s69, v98
	v_add_f32_e32 v96, v212, v96
	v_ldexp_f32 v119, v119, v199
	v_cndmask_b32_e32 v119, 0, v119, vcc
	v_cmp_nlt_f32_e32 vcc, s94, v98
	s_nop 1
	v_cndmask_b32_e32 v214, v242, v119, vcc
	v_add_f32_e32 v119, v214, v96
	v_mul_f32_e32 v96, 0x3fb8aa3b, v94
	v_fma_f32 v98, v94, s47, -v96
	v_rndne_f32_e32 v199, v96
	v_fmac_f32_e32 v98, 0x32a5705f, v94
	v_sub_f32_e32 v96, v96, v199
	v_add_f32_e32 v96, v96, v98
	v_exp_f32_e32 v96, v96
	v_cvt_i32_f32_e32 v98, v199
	v_cmp_ngt_f32_e32 vcc, s69, v94
	v_ldexp_f32 v96, v96, v98
	s_nop 0
	v_cndmask_b32_e32 v96, 0, v96, vcc
	v_cmp_nlt_f32_e32 vcc, s94, v94
	s_nop 1
	v_cndmask_b32_e32 v96, v242, v96, vcc
	v_cmp_le_f32_e32 vcc, s95, v94
	s_nop 1
	v_cndmask_b32_e32 v94, 0, v96, vcc
	v_fmac_f32_e32 v119, v92, v94
	v_cvt_f16_f32_e32 v92, v94
	v_mul_u32_u24_e32 v92, 0x10001, v92
	v_pk_mul_f16 v246, v27, v92
	v_pk_mul_f16 v245, v26, v92
	v_lshl_add_u64 v[26:27], v[140:141], 0, s[14:15]
	v_pk_mul_f16 v251, v218, v92
	v_pk_mul_f16 v218, v28, v92
	;; [unrolled: 1-line block ×3, first 2 shown]
	v_lshl_add_u64 v[28:29], v[56:57], 2, v[26:27]
	v_pk_mul_f16 v248, v202, v92
	v_pk_mul_f16 v244, v200, v92
	v_lshl_add_u64 v[28:29], v[28:29], 0, v[36:37]
	v_lshl_add_u64 v[202:203], v[58:59], 2, v[26:27]
	;; [unrolled: 1-line block ×4, first 2 shown]
	v_pk_mul_f16 v254, v243, v92
	v_pk_mul_f16 v243, v165, v92
	;; [unrolled: 1-line block ×6, first 2 shown]
	v_lshl_add_u64 v[198:199], v[26:27], 0, v[36:37]
	global_load_dwordx4 v[26:29], v[28:29], off
	v_lshl_add_u64 v[202:203], v[202:203], 0, v[36:37]
	v_lshl_add_u64 v[200:201], v[200:201], 0, v[36:37]
	v_pk_mul_f16 v253, v217, v92
	v_pk_mul_f16 v252, v216, v92
	;; [unrolled: 1-line block ×3, first 2 shown]
	v_cvt_f32_f16_e32 v36, v254
	v_cvt_f32_f16_sdwa v77, v254 dst_sel:DWORD dst_unused:UNUSED_PAD src0_sel:WORD_1
	v_cvt_f32_f16_e32 v92, v251
	v_cvt_f32_f16_sdwa v94, v251 dst_sel:DWORD dst_unused:UNUSED_PAD src0_sel:WORD_1
	v_accvgpr_write_b32 a0, v36
	v_accvgpr_write_b32 a1, v77
	;; [unrolled: 1-line block ×4, first 2 shown]
	v_cvt_f32_f16_sdwa v209, v162 dst_sel:DWORD dst_unused:UNUSED_PAD src0_sel:WORD_1
	s_waitcnt vmcnt(0)
	ds_write_b128 v175, v[26:29]
	global_load_dwordx4 v[26:29], v[202:203], off
	s_waitcnt vmcnt(0)
	ds_write_b128 v220, v[26:29]
	global_load_dwordx4 v[26:29], v[200:201], off
	;; [unrolled: 3-line block ×3, first 2 shown]
	s_waitcnt vmcnt(0)
	ds_write_b128 v222, v[26:29]
	s_waitcnt lgkmcnt(0)
	s_barrier
	ds_read_u16 v26, v170
	ds_read_u16 v96, v170 offset:32
	ds_read_u16 v27, v171 offset:272
	;; [unrolled: 1-line block ×3, first 2 shown]
	v_cvt_pk_f16_f32 v29, v204, v208
	s_waitcnt lgkmcnt(1)
	v_perm_b32 v27, v27, v26, s96
	ds_read_u16 v26, v168
	ds_read_u16 v200, v168 offset:32
	ds_read_u16 v28, v169 offset:272
	;; [unrolled: 1-line block ×7, first 2 shown]
	s_waitcnt lgkmcnt(5)
	v_perm_b32 v26, v28, v26, s96
	v_cvt_pk_f16_f32 v28, v249, v250
	s_waitcnt lgkmcnt(0)
	v_perm_b32 v199, v199, v198, s96
	v_perm_b32 v198, v94, v92, s96
	v_mfma_f32_16x16x16_f16 a[0:3], v[26:27], v[28:29], a[0:3]
	v_cvt_f32_f16_sdwa v92, v253 dst_sel:DWORD dst_unused:UNUSED_PAD src0_sel:WORD_1
	v_cvt_f32_f16_e32 v94, v252
	s_nop 5
	v_accvgpr_read_b32 v26, a0
	v_accvgpr_read_b32 v27, a1
	;; [unrolled: 1-line block ×4, first 2 shown]
	v_cvt_f16_f32_e32 v26, v26
	v_cvt_f16_f32_e32 v27, v27
	v_cvt_f16_f32_e32 v36, v36
	v_cvt_f16_f32_e32 v77, v77
	v_cvt_f32_f16_e32 v202, v26
	v_cvt_f32_f16_e32 v203, v27
	;; [unrolled: 1-line block ×4, first 2 shown]
	v_cvt_pk_f16_f32 v27, v212, v214
	v_cvt_pk_f16_f32 v26, v206, v210
	v_accvgpr_write_b32 a0, v202
	v_accvgpr_write_b32 a1, v203
	;; [unrolled: 1-line block ×4, first 2 shown]
	v_cvt_f32_f16_e32 v77, v253
	v_cvt_f32_f16_sdwa v202, v252 dst_sel:DWORD dst_unused:UNUSED_PAD src0_sel:WORD_1
	v_mfma_f32_16x16x16_f16 a[0:3], v[198:199], v[26:27], a[0:3]
	v_perm_b32 v199, v98, v96, s96
	v_perm_b32 v198, v201, v200, s96
	v_cvt_f32_f16_e32 v201, v218
	v_cvt_f32_f16_sdwa v203, v245 dst_sel:DWORD dst_unused:UNUSED_PAD src0_sel:WORD_1
	s_nop 3
	v_accvgpr_read_b32 v36, a0
	v_accvgpr_read_b32 v249, a1
	;; [unrolled: 1-line block ×4, first 2 shown]
	v_accvgpr_write_b32 a0, v77
	v_accvgpr_write_b32 a1, v92
	v_accvgpr_write_b32 a2, v94
	v_accvgpr_write_b32 a3, v202
	v_cvt_f32_f16_sdwa v202, v218 dst_sel:DWORD dst_unused:UNUSED_PAD src0_sel:WORD_1
	s_nop 0
	v_mfma_f32_16x16x16_f16 a[0:3], v[198:199], v[28:29], a[0:3]
	ds_read_u16 v98, v168 offset:8736
	ds_read_u16 v198, v169 offset:9008
	;; [unrolled: 1-line block ×4, first 2 shown]
	s_waitcnt lgkmcnt(2)
	v_perm_b32 v198, v198, v98, s96
	v_cvt_f32_f16_e32 v98, v216
	s_nop 0
	v_accvgpr_read_b32 v77, a0
	v_accvgpr_read_b32 v92, a1
	;; [unrolled: 1-line block ×4, first 2 shown]
	v_cvt_f16_f32_e32 v77, v77
	v_cvt_f16_f32_e32 v92, v92
	;; [unrolled: 1-line block ×4, first 2 shown]
	v_cvt_f32_f16_e32 v77, v77
	v_cvt_f32_f16_e32 v92, v92
	;; [unrolled: 1-line block ×4, first 2 shown]
	s_waitcnt lgkmcnt(0)
	v_perm_b32 v199, v200, v199, s96
	v_accvgpr_write_b32 a0, v77
	v_accvgpr_write_b32 a1, v92
	;; [unrolled: 1-line block ×4, first 2 shown]
	ds_read_u16 v77, v168 offset:64
	ds_read_u16 v92, v169 offset:336
	;; [unrolled: 1-line block ×4, first 2 shown]
	v_mfma_f32_16x16x16_f16 a[0:3], v[198:199], v[26:27], a[0:3]
	v_cvt_f32_f16_sdwa v200, v216 dst_sel:DWORD dst_unused:UNUSED_PAD src0_sel:WORD_1
	s_waitcnt lgkmcnt(2)
	v_perm_b32 v198, v92, v77, s96
	s_waitcnt lgkmcnt(0)
	v_perm_b32 v199, v96, v94, s96
	s_nop 2
	v_accvgpr_read_b32 v252, a0
	v_accvgpr_read_b32 v253, a1
	;; [unrolled: 1-line block ×4, first 2 shown]
	v_accvgpr_write_b32 a0, v98
	v_accvgpr_write_b32 a1, v200
	;; [unrolled: 1-line block ×4, first 2 shown]
	v_cvt_f32_f16_e32 v201, v247
	v_cvt_f32_f16_sdwa v202, v247 dst_sel:DWORD dst_unused:UNUSED_PAD src0_sel:WORD_1
	v_mfma_f32_16x16x16_f16 a[0:3], v[198:199], v[28:29], a[0:3]
	ds_read_u16 v98, v168 offset:8768
	ds_read_u16 v198, v169 offset:9040
	;; [unrolled: 1-line block ×4, first 2 shown]
	s_waitcnt lgkmcnt(2)
	v_perm_b32 v198, v198, v98, s96
	v_cvt_f32_f16_e32 v98, v248
	s_nop 0
	v_accvgpr_read_b32 v77, a0
	v_accvgpr_read_b32 v92, a1
	;; [unrolled: 1-line block ×4, first 2 shown]
	v_cvt_f16_f32_e32 v77, v77
	v_cvt_f16_f32_e32 v92, v92
	;; [unrolled: 1-line block ×4, first 2 shown]
	v_cvt_f32_f16_e32 v77, v77
	v_cvt_f32_f16_e32 v92, v92
	;; [unrolled: 1-line block ×4, first 2 shown]
	s_waitcnt lgkmcnt(0)
	v_perm_b32 v199, v200, v199, s96
	v_accvgpr_write_b32 a0, v77
	v_accvgpr_write_b32 a1, v92
	;; [unrolled: 1-line block ×4, first 2 shown]
	ds_read_u16 v77, v168 offset:96
	ds_read_u16 v92, v169 offset:368
	ds_read_u16 v94, v170 offset:96
	ds_read_u16 v96, v171 offset:368
	v_mfma_f32_16x16x16_f16 a[0:3], v[198:199], v[26:27], a[0:3]
	v_cvt_f32_f16_sdwa v200, v248 dst_sel:DWORD dst_unused:UNUSED_PAD src0_sel:WORD_1
	s_waitcnt lgkmcnt(2)
	v_perm_b32 v198, v92, v77, s96
	s_waitcnt lgkmcnt(0)
	v_perm_b32 v199, v96, v94, s96
	s_nop 2
	v_accvgpr_read_b32 v212, a0
	v_accvgpr_read_b32 v214, a1
	;; [unrolled: 1-line block ×4, first 2 shown]
	v_accvgpr_write_b32 a0, v98
	v_accvgpr_write_b32 a1, v200
	;; [unrolled: 1-line block ×4, first 2 shown]
	v_cvt_f32_f16_e32 v201, v245
	s_nop 0
	v_mfma_f32_16x16x16_f16 a[0:3], v[198:199], v[28:29], a[0:3]
	ds_read_u16 v98, v168 offset:8800
	ds_read_u16 v198, v169 offset:9072
	;; [unrolled: 1-line block ×4, first 2 shown]
	s_waitcnt lgkmcnt(2)
	v_perm_b32 v198, v198, v98, s96
	v_cvt_f32_f16_e32 v98, v246
	s_nop 0
	v_accvgpr_read_b32 v77, a0
	v_accvgpr_read_b32 v92, a1
	v_accvgpr_read_b32 v94, a2
	v_accvgpr_read_b32 v96, a3
	v_cvt_f16_f32_e32 v77, v77
	v_cvt_f16_f32_e32 v92, v92
	;; [unrolled: 1-line block ×4, first 2 shown]
	v_cvt_f32_f16_e32 v77, v77
	v_cvt_f32_f16_e32 v92, v92
	;; [unrolled: 1-line block ×4, first 2 shown]
	s_waitcnt lgkmcnt(0)
	v_perm_b32 v199, v200, v199, s96
	v_accvgpr_write_b32 a0, v77
	v_accvgpr_write_b32 a1, v92
	v_accvgpr_write_b32 a2, v94
	v_accvgpr_write_b32 a3, v96
	ds_read_u16 v77, v168 offset:128
	ds_read_u16 v92, v169 offset:400
	;; [unrolled: 1-line block ×4, first 2 shown]
	v_mfma_f32_16x16x16_f16 a[0:3], v[198:199], v[26:27], a[0:3]
	v_cvt_f32_f16_sdwa v200, v246 dst_sel:DWORD dst_unused:UNUSED_PAD src0_sel:WORD_1
	s_waitcnt lgkmcnt(2)
	v_perm_b32 v198, v92, v77, s96
	s_waitcnt lgkmcnt(0)
	v_perm_b32 v199, v96, v94, s96
	s_nop 2
	v_accvgpr_read_b32 v202, a0
	v_accvgpr_read_b32 v204, a1
	;; [unrolled: 1-line block ×4, first 2 shown]
	v_accvgpr_write_b32 a0, v98
	v_accvgpr_write_b32 a1, v200
	;; [unrolled: 1-line block ×4, first 2 shown]
	v_cvt_f32_f16_e32 v201, v243
	v_cvt_f32_f16_sdwa v203, v243 dst_sel:DWORD dst_unused:UNUSED_PAD src0_sel:WORD_1
	v_mfma_f32_16x16x16_f16 a[0:3], v[198:199], v[28:29], a[0:3]
	ds_read_u16 v98, v168 offset:8832
	ds_read_u16 v198, v169 offset:9104
	ds_read_u16 v199, v170 offset:8832
	ds_read_u16 v200, v171 offset:9104
	v_cvt_pk_f16_f32 v202, v202, v204
	s_waitcnt lgkmcnt(2)
	v_perm_b32 v198, v198, v98, s96
	v_cvt_f32_f16_e32 v98, v244
	v_accvgpr_read_b32 v77, a0
	v_accvgpr_read_b32 v92, a1
	;; [unrolled: 1-line block ×4, first 2 shown]
	v_cvt_f16_f32_e32 v77, v77
	v_cvt_f16_f32_e32 v92, v92
	;; [unrolled: 1-line block ×4, first 2 shown]
	v_cvt_f32_f16_e32 v77, v77
	v_cvt_f32_f16_e32 v92, v92
	;; [unrolled: 1-line block ×4, first 2 shown]
	s_waitcnt lgkmcnt(0)
	v_perm_b32 v199, v200, v199, s96
	v_accvgpr_write_b32 a0, v77
	v_accvgpr_write_b32 a1, v92
	;; [unrolled: 1-line block ×4, first 2 shown]
	ds_read_u16 v77, v168 offset:160
	ds_read_u16 v92, v169 offset:432
	;; [unrolled: 1-line block ×4, first 2 shown]
	v_mfma_f32_16x16x16_f16 a[0:3], v[198:199], v[26:27], a[0:3]
	v_cvt_f32_f16_sdwa v200, v244 dst_sel:DWORD dst_unused:UNUSED_PAD src0_sel:WORD_1
	s_waitcnt lgkmcnt(2)
	v_perm_b32 v198, v92, v77, s96
	s_waitcnt lgkmcnt(0)
	v_perm_b32 v199, v96, v94, s96
	s_nop 2
	v_accvgpr_read_b32 v218, a0
	v_accvgpr_read_b32 v245, a1
	;; [unrolled: 1-line block ×4, first 2 shown]
	v_accvgpr_write_b32 a0, v98
	v_accvgpr_write_b32 a1, v200
	;; [unrolled: 1-line block ×4, first 2 shown]
	v_cvt_f32_f16_e32 v201, v164
	v_cvt_f32_f16_sdwa v203, v164 dst_sel:DWORD dst_unused:UNUSED_PAD src0_sel:WORD_1
	v_mfma_f32_16x16x16_f16 a[0:3], v[198:199], v[28:29], a[0:3]
	ds_read_u16 v98, v168 offset:8864
	ds_read_u16 v198, v169 offset:9136
	ds_read_u16 v199, v170 offset:8864
	ds_read_u16 v200, v171 offset:9136
	s_waitcnt lgkmcnt(2)
	v_perm_b32 v198, v198, v98, s96
	s_waitcnt lgkmcnt(0)
	v_perm_b32 v199, v200, v199, s96
	v_accvgpr_read_b32 v92, a1
	v_accvgpr_read_b32 v94, a2
	v_accvgpr_read_b32 v96, a3
	v_cvt_f16_f32_e32 v92, v92
	v_cvt_f16_f32_e32 v94, v94
	;; [unrolled: 1-line block ×3, first 2 shown]
	v_accvgpr_read_b32 v77, a0
	v_cvt_f16_f32_e32 v77, v77
	v_cvt_f32_f16_e32 v92, v92
	v_cvt_f32_f16_e32 v94, v94
	;; [unrolled: 1-line block ×4, first 2 shown]
	v_accvgpr_write_b32 a1, v92
	v_accvgpr_write_b32 a2, v94
	;; [unrolled: 1-line block ×3, first 2 shown]
	ds_read_u16 v92, v168 offset:192
	ds_read_u16 v94, v169 offset:464
	;; [unrolled: 1-line block ×4, first 2 shown]
	v_accvgpr_write_b32 a0, v77
	s_waitcnt lgkmcnt(2)
	v_perm_b32 v164, v94, v92, s96
	v_mfma_f32_16x16x16_f16 a[0:3], v[198:199], v[26:27], a[0:3]
	v_cvt_f32_f16_e32 v198, v165
	v_cvt_f32_f16_sdwa v199, v165 dst_sel:DWORD dst_unused:UNUSED_PAD src0_sel:WORD_1
	s_waitcnt lgkmcnt(0)
	v_perm_b32 v165, v98, v96, s96
	s_nop 3
	v_accvgpr_read_b32 v77, a0
	v_accvgpr_read_b32 v200, a1
	;; [unrolled: 1-line block ×4, first 2 shown]
	v_accvgpr_write_b32 a0, v198
	v_accvgpr_write_b32 a1, v199
	;; [unrolled: 1-line block ×4, first 2 shown]
	v_cvt_f32_f16_sdwa v201, v163 dst_sel:DWORD dst_unused:UNUSED_PAD src0_sel:WORD_1
	v_cvt_f32_f16_e32 v203, v162
	v_mfma_f32_16x16x16_f16 a[0:3], v[164:165], v[28:29], a[0:3]
	ds_read_u16 v164, v168 offset:8896
	ds_read_u16 v198, v169 offset:9168
	;; [unrolled: 1-line block ×4, first 2 shown]
	v_cvt_pk_f16_f32 v200, v77, v200
	v_cvt_pk_f16_f32 v77, v212, v214
	s_waitcnt lgkmcnt(2)
	v_perm_b32 v164, v198, v164, s96
	s_waitcnt lgkmcnt(0)
	v_perm_b32 v165, v199, v165, s96
	v_accvgpr_read_b32 v92, a0
	v_accvgpr_read_b32 v94, a1
	v_accvgpr_read_b32 v96, a2
	v_cvt_f16_f32_e32 v92, v92
	v_cvt_f16_f32_e32 v94, v94
	;; [unrolled: 1-line block ×3, first 2 shown]
	v_accvgpr_read_b32 v98, a3
	v_cvt_f16_f32_e32 v98, v98
	v_cvt_f32_f16_e32 v92, v92
	v_cvt_f32_f16_e32 v94, v94
	;; [unrolled: 1-line block ×4, first 2 shown]
	v_accvgpr_write_b32 a0, v92
	v_accvgpr_write_b32 a1, v94
	;; [unrolled: 1-line block ×3, first 2 shown]
	ds_read_u16 v92, v168 offset:224
	ds_read_u16 v94, v169 offset:496
	;; [unrolled: 1-line block ×4, first 2 shown]
	v_accvgpr_write_b32 a3, v98
	v_cvt_f32_f16_e32 v199, v163
	s_waitcnt lgkmcnt(2)
	v_perm_b32 v162, v94, v92, s96
	v_mfma_f32_16x16x16_f16 a[0:3], v[164:165], v[26:27], a[0:3]
	s_waitcnt lgkmcnt(0)
	v_perm_b32 v163, v198, v96, s96
	s_nop 5
	v_accvgpr_read_b32 v98, a0
	v_accvgpr_read_b32 v164, a1
	;; [unrolled: 1-line block ×4, first 2 shown]
	v_accvgpr_write_b32 a0, v199
	v_accvgpr_write_b32 a1, v201
	;; [unrolled: 1-line block ×4, first 2 shown]
	v_cvt_pk_f16_f32 v164, v98, v164
	s_nop 0
	v_mfma_f32_16x16x16_f16 a[0:3], v[162:163], v[28:29], a[0:3]
	ds_read_u16 v162, v168 offset:8928
	ds_read_u16 v198, v169 offset:9200
	;; [unrolled: 1-line block ×4, first 2 shown]
	s_waitcnt lgkmcnt(0)
	s_barrier
	s_nop 1
	v_accvgpr_read_b32 v92, a2
	v_accvgpr_read_b32 v28, a0
	;; [unrolled: 1-line block ×3, first 2 shown]
	v_cvt_f16_f32_e32 v96, v92
	v_accvgpr_read_b32 v92, a3
	v_cvt_f16_f32_e32 v28, v28
	v_cvt_f16_f32_e32 v29, v29
	;; [unrolled: 1-line block ×3, first 2 shown]
	v_cvt_f32_f16_e32 v96, v96
	v_cvt_f32_f16_e32 v92, v28
	;; [unrolled: 1-line block ×4, first 2 shown]
	v_perm_b32 v29, v211, v94, s96
	v_perm_b32 v28, v198, v162, s96
	v_accvgpr_write_b32 a0, v92
	v_accvgpr_write_b32 a1, v199
	;; [unrolled: 1-line block ×4, first 2 shown]
	v_cvt_pk_f16_f32 v163, v165, v215
	v_cvt_pk_f16_f32 v165, v217, v243
	v_mfma_f32_16x16x16_f16 a[0:3], v[28:29], v[26:27], a[0:3]
	v_cvt_pk_f16_f32 v217, v252, v253
	v_cvt_pk_f16_f32 v243, v36, v249
	s_nop 5
	v_accvgpr_read_b32 v26, a0
	v_accvgpr_read_b32 v27, a1
	;; [unrolled: 1-line block ×4, first 2 shown]
	v_cvt_pk_f16_f32 v162, v26, v27
	v_cvt_pk_f16_f32 v198, v28, v29
	;; [unrolled: 1-line block ×8, first 2 shown]
	s_cbranch_scc0 .LBB0_70
; %bb.67:                               ;   in Loop: Header=BB0_66 Depth=2
	v_mov_b32_e32 v92, v119
	v_mov_b32_e32 v94, v117
	s_ashr_i32 s11, s10, 31
	s_and_saveexec_b64 s[14:15], s[0:1]
	s_cbranch_execnz .LBB0_65
	s_branch .LBB0_66
.LBB0_68:                               ;   in Loop: Header=BB0_12 Depth=1
	s_cbranch_execz .LBB0_11
	s_branch .LBB0_163
.LBB0_69:                               ;   in Loop: Header=BB0_12 Depth=1
	v_mov_b32_e32 v117, 0xfeffffff
	v_mov_b32_e32 v119, 0
	;; [unrolled: 1-line block ×18, first 2 shown]
.LBB0_70:                               ;   in Loop: Header=BB0_12 Depth=1
	s_lshl_b32 s10, s76, 6
	s_ashr_i32 s11, s10, 31
	s_and_saveexec_b64 s[14:15], s[0:1]
	s_cbranch_execz .LBB0_72
; %bb.71:                               ;   in Loop: Header=BB0_12 Depth=1
	v_add_u32_e32 v36, v111, v71
	v_lshl_or_b32 v36, v36, 1, v91
	v_mul_hi_u32 v92, s44, v36
	v_add_u32_e32 v92, v36, v92
	v_lshrrev_b32_e32 v92, s45, v92
	v_mul_lo_u32 v92, v92, s36
	s_lshl_b64 s[76:77], s[10:11], 1
	v_sub_u32_e32 v36, v36, v92
	v_lshl_add_u64 v[158:159], v[144:145], 0, s[76:77]
	v_mad_i64_i32 v[160:161], s[76:77], v36, s46, 0
	v_lshl_add_u64 v[158:159], v[160:161], 1, v[158:159]
	v_lshlrev_b32_e32 v36, 1, v34
	v_lshl_add_u64 v[158:159], v[158:159], 0, v[36:37]
	global_load_dword v36, v[158:159], off
	s_waitcnt vmcnt(0)
	ds_write_b32 v95, v36 offset:17408
.LBB0_72:                               ;   in Loop: Header=BB0_12 Depth=1
	s_or_b64 exec, exec, s[14:15]
	s_mul_hi_i32 s15, s10, s38
	s_mul_i32 s14, s10, s38
	s_lshl_b64 s[14:15], s[14:15], 2
	v_lshl_add_u64 v[208:209], v[142:143], 0, s[14:15]
	v_lshl_add_u64 v[158:159], v[52:53], 2, v[208:209]
	v_lshlrev_b32_e32 v36, 2, v48
	v_lshl_add_u64 v[158:159], v[158:159], 0, v[36:37]
	global_load_dwordx4 v[158:161], v[158:159], off offset:256
	v_add_u32_e32 v92, 0x2000, v166
	s_mul_hi_i32 s11, s10, s34
	s_mul_i32 s10, s10, s34
	s_lshl_b64 s[10:11], s[10:11], 2
	s_waitcnt vmcnt(0)
	ds_write_b128 v97, v[158:161]
	v_lshl_add_u64 v[158:159], v[38:39], 2, v[208:209]
	v_lshl_add_u64 v[158:159], v[158:159], 0, v[36:37]
	global_load_dwordx4 v[158:161], v[158:159], off offset:256
	v_lshlrev_b32_e32 v36, 2, v104
	s_waitcnt vmcnt(0)
	ds_write_b128 v99, v[158:161]
	s_waitcnt lgkmcnt(0)
	s_barrier
	ds_read2_b64 v[158:161], v166 offset1:4
	s_waitcnt lgkmcnt(0)
	v_mfma_f32_16x16x16_f16 a[0:3], v[158:159], v[22:23], 0
	v_mfma_f32_16x16x16_f16 a[0:3], v[160:161], v[24:25], a[0:3]
	ds_read2_b64 v[158:161], v166 offset0:8 offset1:12
	s_waitcnt lgkmcnt(0)
	v_mfma_f32_16x16x16_f16 a[0:3], v[158:159], v[18:19], a[0:3]
	v_mfma_f32_16x16x16_f16 a[0:3], v[160:161], v[20:21], a[0:3]
	ds_read2_b64 v[158:161], v92 offset0:64 offset1:68
	;; [unrolled: 4-line block ×3, first 2 shown]
	s_waitcnt lgkmcnt(0)
	s_barrier
	v_mfma_f32_16x16x16_f16 a[4:7], v[22:23], v[18:19], a[4:7]
	v_lshl_add_u64 v[18:19], v[40:41], 2, v[208:209]
	v_lshl_add_u64 v[18:19], v[18:19], 0, v[36:37]
	v_mfma_f32_16x16x16_f16 a[4:7], v[24:25], v[20:21], a[4:7]
	global_load_dwordx4 v[18:21], v[18:19], off
	s_waitcnt vmcnt(0)
	ds_write_b128 v175, v[18:21]
	v_lshl_add_u64 v[18:19], v[42:43], 2, v[208:209]
	v_lshl_add_u64 v[18:19], v[18:19], 0, v[36:37]
	global_load_dwordx4 v[18:21], v[18:19], off
	s_waitcnt vmcnt(0)
	ds_write_b128 v220, v[18:21]
	v_lshl_add_u64 v[18:19], v[44:45], 2, v[208:209]
	v_lshl_add_u64 v[18:19], v[18:19], 0, v[36:37]
	;; [unrolled: 5-line block ×3, first 2 shown]
	global_load_dwordx4 v[18:21], v[18:19], off
	s_waitcnt vmcnt(0)
	ds_write_b128 v222, v[18:21]
	s_waitcnt lgkmcnt(0)
	s_barrier
	ds_read2_b64 v[18:21], v166 offset1:4
	s_waitcnt lgkmcnt(0)
	v_mfma_f32_16x16x16_f16 a[0:3], v[18:19], v[14:15], a[0:3]
	v_mfma_f32_16x16x16_f16 a[0:3], v[20:21], v[16:17], a[0:3]
	ds_read2_b64 v[18:21], v166 offset0:8 offset1:12
	s_waitcnt lgkmcnt(0)
	v_mfma_f32_16x16x16_f16 a[0:3], v[18:19], v[10:11], a[0:3]
	v_mfma_f32_16x16x16_f16 a[0:3], v[20:21], v[12:13], a[0:3]
	ds_read2_b64 v[18:21], v166 offset0:16 offset1:20
	;; [unrolled: 4-line block ×7, first 2 shown]
	s_waitcnt lgkmcnt(0)
	s_barrier
	v_mfma_f32_16x16x16_f16 a[4:7], v[6:7], v[2:3], a[4:7]
	v_add_u32_e32 v2, 0x4400, v167
	ds_read2_b32 v[2:3], v2 offset1:1
	v_mfma_f32_16x16x16_f16 a[4:7], v[8:9], v[4:5], a[4:7]
	v_accvgpr_read_b32 v5, a0
	v_accvgpr_read_b32 v6, a2
	s_waitcnt lgkmcnt(0)
	v_cvt_f32_f16_e32 v4, v2
	v_cvt_f32_f16_sdwa v2, v2 dst_sel:DWORD dst_unused:UNUSED_PAD src0_sel:WORD_1
	v_add_f32_e32 v4, v5, v4
	v_accvgpr_read_b32 v5, a1
	v_add_f32_e32 v2, v5, v2
	v_cvt_f32_f16_e32 v5, v3
	v_cvt_f32_f16_sdwa v3, v3 dst_sel:DWORD dst_unused:UNUSED_PAD src0_sel:WORD_1
	v_accvgpr_read_b32 v8, a4
	v_add_f32_e32 v5, v6, v5
	v_accvgpr_read_b32 v6, a3
	v_add_f32_e32 v3, v6, v3
	ds_read_b32 v6, v176 offset:17408
	s_waitcnt lgkmcnt(0)
	v_cvt_f32_f16_e32 v7, v6
	v_cvt_f32_f16_sdwa v6, v6 dst_sel:DWORD dst_unused:UNUSED_PAD src0_sel:WORD_1
	v_add_f32_e32 v9, v8, v7
	v_accvgpr_read_b32 v7, a5
	v_add_f32_e32 v10, v7, v6
	ds_read_b32 v6, v177 offset:17408
	v_accvgpr_read_b32 v8, a6
	s_waitcnt lgkmcnt(0)
	v_cvt_f32_f16_e32 v7, v6
	v_cvt_f32_f16_sdwa v6, v6 dst_sel:DWORD dst_unused:UNUSED_PAD src0_sel:WORD_1
	v_add_f32_e32 v11, v8, v7
	v_accvgpr_read_b32 v7, a7
	v_add_f32_e32 v13, v7, v6
	v_add_f32_e32 v6, 0x40051340, v4
	;; [unrolled: 1-line block ×3, first 2 shown]
	v_max3_f32 v6, v117, v6, v7
	v_add_f32_e32 v7, 0x40051340, v5
	v_add_f32_e32 v8, 0x40051340, v3
	v_max3_f32 v6, v6, v7, v8
	v_add_f32_e32 v7, 0x40051340, v9
	v_add_f32_e32 v8, 0x40051340, v10
	;; [unrolled: 3-line block ×3, first 2 shown]
	v_max3_f32 v6, v6, v7, v8
	v_and_b32_e32 v7, 64, v241
	v_add_u32_e32 v8, 64, v7
	v_xor_b32_e32 v7, 32, v241
	v_cmp_lt_i32_e32 vcc, v7, v8
	s_nop 1
	v_cndmask_b32_e32 v7, v241, v7, vcc
	v_lshlrev_b32_e32 v7, 2, v7
	ds_bpermute_b32 v12, v7, v6
	s_waitcnt lgkmcnt(0)
	v_max_f32_e32 v12, v12, v12
	v_max_f32_e32 v6, v6, v12
	v_xor_b32_e32 v12, 16, v241
	v_cmp_lt_i32_e32 vcc, v12, v8
	s_nop 1
	v_cndmask_b32_e32 v8, v241, v12, vcc
	v_lshlrev_b32_e32 v8, 2, v8
	ds_bpermute_b32 v12, v8, v6
	s_waitcnt lgkmcnt(0)
	v_max_f32_e32 v12, v12, v12
	v_max_f32_e32 v6, v6, v12
	v_sub_f32_e32 v4, v4, v6
	v_mul_f32_e32 v12, 0x3fb8aa3b, v4
	v_fma_f32 v14, v4, s47, -v12
	v_rndne_f32_e32 v15, v12
	v_fmac_f32_e32 v14, 0x32a5705f, v4
	v_sub_f32_e32 v12, v12, v15
	v_add_f32_e32 v12, v12, v14
	v_exp_f32_e32 v12, v12
	v_cvt_i32_f32_e32 v14, v15
	v_cmp_ngt_f32_e32 vcc, s69, v4
	v_sub_f32_e32 v2, v2, v6
	v_sub_f32_e32 v3, v3, v6
	v_ldexp_f32 v12, v12, v14
	v_cndmask_b32_e32 v12, 0, v12, vcc
	v_cmp_nlt_f32_e32 vcc, s94, v4
	v_mul_f32_e32 v4, 0x3fb8aa3b, v2
	v_fma_f32 v14, v2, s47, -v4
	v_rndne_f32_e32 v15, v4
	v_fmac_f32_e32 v14, 0x32a5705f, v2
	v_sub_f32_e32 v4, v4, v15
	v_add_f32_e32 v4, v4, v14
	v_exp_f32_e32 v4, v4
	v_cvt_i32_f32_e32 v14, v15
	v_cndmask_b32_e32 v12, v242, v12, vcc
	v_cmp_ngt_f32_e32 vcc, s69, v2
	v_ldexp_f32 v4, v4, v14
	s_nop 0
	v_cndmask_b32_e32 v4, 0, v4, vcc
	v_cmp_nlt_f32_e32 vcc, s94, v2
	s_nop 1
	v_cndmask_b32_e32 v15, v242, v4, vcc
	v_sub_f32_e32 v4, v5, v6
	v_mul_f32_e32 v5, 0x3fb8aa3b, v4
	v_fma_f32 v14, v4, s47, -v5
	v_rndne_f32_e32 v16, v5
	v_fmac_f32_e32 v14, 0x32a5705f, v4
	v_sub_f32_e32 v5, v5, v16
	v_add_f32_e32 v5, v5, v14
	v_exp_f32_e32 v5, v5
	v_cvt_i32_f32_e32 v14, v16
	v_cmp_ngt_f32_e32 vcc, s69, v4
	v_add_f32_e32 v2, v12, v15
	v_ldexp_f32 v5, v5, v14
	v_cndmask_b32_e32 v5, 0, v5, vcc
	v_cmp_nlt_f32_e32 vcc, s94, v4
	v_mul_f32_e32 v4, 0x3fb8aa3b, v3
	v_rndne_f32_e32 v14, v4
	v_cndmask_b32_e32 v18, v242, v5, vcc
	v_fma_f32 v5, v3, s47, -v4
	v_fmac_f32_e32 v5, 0x32a5705f, v3
	v_sub_f32_e32 v4, v4, v14
	v_add_f32_e32 v4, v4, v5
	v_exp_f32_e32 v4, v4
	v_cvt_i32_f32_e32 v5, v14
	v_cmp_ngt_f32_e32 vcc, s69, v3
	v_add_f32_e32 v2, v18, v2
	v_ldexp_f32 v4, v4, v5
	v_cndmask_b32_e32 v4, 0, v4, vcc
	v_cmp_nlt_f32_e32 vcc, s94, v3
	v_sub_f32_e32 v3, v9, v6
	s_nop 0
	v_cndmask_b32_e32 v20, v242, v4, vcc
	v_mul_f32_e32 v4, 0x3fb8aa3b, v3
	v_fma_f32 v5, v3, s47, -v4
	v_rndne_f32_e32 v9, v4
	v_fmac_f32_e32 v5, 0x32a5705f, v3
	v_sub_f32_e32 v4, v4, v9
	v_add_f32_e32 v4, v4, v5
	v_exp_f32_e32 v4, v4
	v_cvt_i32_f32_e32 v5, v9
	v_cmp_ngt_f32_e32 vcc, s69, v3
	v_add_f32_e32 v2, v20, v2
	v_ldexp_f32 v4, v4, v5
	v_cndmask_b32_e32 v4, 0, v4, vcc
	v_cmp_nlt_f32_e32 vcc, s94, v3
	v_sub_f32_e32 v3, v10, v6
	s_nop 0
	v_cndmask_b32_e32 v19, v242, v4, vcc
	v_mul_f32_e32 v4, 0x3fb8aa3b, v3
	v_fma_f32 v5, v3, s47, -v4
	v_rndne_f32_e32 v9, v4
	;; [unrolled: 16-line block ×4, first 2 shown]
	v_fmac_f32_e32 v5, 0x32a5705f, v3
	v_sub_f32_e32 v4, v4, v9
	v_add_f32_e32 v4, v4, v5
	v_exp_f32_e32 v4, v4
	v_cvt_i32_f32_e32 v5, v9
	v_cmp_ngt_f32_e32 vcc, s69, v3
	v_add_f32_e32 v2, v22, v2
	v_ldexp_f32 v4, v4, v5
	v_cndmask_b32_e32 v4, 0, v4, vcc
	v_cmp_nlt_f32_e32 vcc, s94, v3
	s_nop 1
	v_cndmask_b32_e32 v23, v242, v4, vcc
	v_add_f32_e32 v9, v23, v2
	v_sub_f32_e32 v2, v117, v6
	v_mul_f32_e32 v3, 0x3fb8aa3b, v2
	v_fma_f32 v4, v2, s47, -v3
	v_rndne_f32_e32 v5, v3
	v_fmac_f32_e32 v4, 0x32a5705f, v2
	v_sub_f32_e32 v3, v3, v5
	v_add_f32_e32 v3, v3, v4
	v_exp_f32_e32 v3, v3
	v_cvt_i32_f32_e32 v4, v5
	v_cmp_ngt_f32_e32 vcc, s69, v2
	v_ldexp_f32 v3, v3, v4
	s_nop 0
	v_cndmask_b32_e32 v3, 0, v3, vcc
	v_cmp_nlt_f32_e32 vcc, s94, v2
	s_nop 1
	v_cndmask_b32_e32 v3, v242, v3, vcc
	v_cmp_le_f32_e32 vcc, s95, v2
	s_nop 1
	v_cndmask_b32_e32 v2, 0, v3, vcc
	v_fmac_f32_e32 v9, v119, v2
	v_cvt_f16_f32_e32 v2, v2
	ds_bpermute_b32 v7, v7, v9
	v_cmp_ne_u64_e32 vcc, 0, v[138:139]
	s_and_b64 s[14:15], s[12:13], vcc
	v_mul_u32_u24_e32 v2, 0x10001, v2
	v_pk_mul_f16 v159, v243, v2
	v_pk_mul_f16 v158, v218, v2
	v_pk_mul_f16 v25, v217, v2
	v_pk_mul_f16 v24, v216, v2
	v_pk_mul_f16 v119, v77, v2
	v_pk_mul_f16 v28, v28, v2
	v_pk_mul_f16 v117, v202, v2
	v_pk_mul_f16 v29, v29, v2
	v_pk_mul_f16 v27, v27, v2
	v_pk_mul_f16 v26, v26, v2
	v_pk_mul_f16 v17, v200, v2
	v_pk_mul_f16 v16, v165, v2
	v_pk_mul_f16 v14, v164, v2
	v_pk_mul_f16 v13, v163, v2
	v_pk_mul_f16 v11, v162, v2
	v_pk_mul_f16 v10, v198, v2
	v_lshl_add_u64 v[2:3], v[140:141], 0, s[10:11]
	v_lshl_add_u64 v[4:5], v[56:57], 2, v[2:3]
	;; [unrolled: 1-line block ×7, first 2 shown]
	global_load_dwordx4 v[2:5], v[4:5], off
	v_lshl_add_u64 v[160:161], v[160:161], 0, v[36:37]
	v_lshl_add_u64 v[162:163], v[162:163], 0, v[36:37]
	v_cvt_f32_f16_e32 v36, v159
	v_cvt_f32_f16_sdwa v77, v159 dst_sel:DWORD dst_unused:UNUSED_PAD src0_sel:WORD_1
	v_cvt_f32_f16_e32 v92, v158
	v_cvt_f32_f16_sdwa v94, v158 dst_sel:DWORD dst_unused:UNUSED_PAD src0_sel:WORD_1
	v_accvgpr_write_b32 a0, v36
	v_accvgpr_write_b32 a1, v77
	;; [unrolled: 1-line block ×4, first 2 shown]
	v_cvt_f32_f16_sdwa v198, v17 dst_sel:DWORD dst_unused:UNUSED_PAD src0_sel:WORD_1
	v_cvt_f32_f16_e32 v199, v16
	v_cvt_f32_f16_sdwa v200, v16 dst_sel:DWORD dst_unused:UNUSED_PAD src0_sel:WORD_1
	v_cvt_f32_f16_sdwa v201, v11 dst_sel:DWORD dst_unused:UNUSED_PAD src0_sel:WORD_1
	v_cvt_f32_f16_e32 v203, v10
	s_waitcnt lgkmcnt(0)
	v_add_f32_e32 v7, v9, v7
	ds_bpermute_b32 v9, v8, v7
	s_waitcnt lgkmcnt(0)
	v_add_f32_e32 v7, v7, v9
	s_waitcnt vmcnt(0)
	ds_write_b128 v175, v[2:5]
	global_load_dwordx4 v[2:5], v[160:161], off
	s_waitcnt vmcnt(0)
	ds_write_b128 v220, v[2:5]
	global_load_dwordx4 v[2:5], v[162:163], off
	v_cvt_f32_f16_e32 v162, v29
	v_cvt_f32_f16_sdwa v29, v29 dst_sel:DWORD dst_unused:UNUSED_PAD src0_sel:WORD_1
	v_cvt_f32_f16_sdwa v163, v27 dst_sel:DWORD dst_unused:UNUSED_PAD src0_sel:WORD_1
	s_waitcnt vmcnt(0)
	ds_write_b128 v221, v[2:5]
	global_load_dwordx4 v[2:5], v[164:165], off
	v_cvt_f32_f16_e32 v164, v26
	v_cvt_f32_f16_sdwa v165, v26 dst_sel:DWORD dst_unused:UNUSED_PAD src0_sel:WORD_1
	s_waitcnt vmcnt(0)
	ds_write_b128 v222, v[2:5]
	s_waitcnt lgkmcnt(0)
	s_barrier
	ds_read_u16 v2, v170
	ds_read_u16 v96, v170 offset:32
	ds_read_u16 v3, v171 offset:272
	;; [unrolled: 1-line block ×3, first 2 shown]
	v_cvt_pk_f16_f32 v5, v18, v20
	s_waitcnt lgkmcnt(1)
	v_perm_b32 v3, v3, v2, s96
	ds_read_u16 v2, v168
	ds_read_u16 v160, v168 offset:32
	ds_read_u16 v4, v169 offset:272
	;; [unrolled: 1-line block ×7, first 2 shown]
	s_waitcnt lgkmcnt(5)
	v_perm_b32 v2, v4, v2, s96
	v_cvt_pk_f16_f32 v4, v12, v15
	s_waitcnt lgkmcnt(0)
	v_perm_b32 v159, v77, v36, s96
	v_perm_b32 v158, v20, v18, s96
	v_mfma_f32_16x16x16_f16 a[0:3], v[2:3], v[4:5], a[0:3]
	v_cvt_f32_f16_e32 v36, v24
	v_cvt_f32_f16_sdwa v24, v24 dst_sel:DWORD dst_unused:UNUSED_PAD src0_sel:WORD_1
	s_nop 5
	v_accvgpr_read_b32 v2, a0
	v_accvgpr_read_b32 v3, a1
	;; [unrolled: 1-line block ×4, first 2 shown]
	v_cvt_f16_f32_e32 v2, v2
	v_cvt_f16_f32_e32 v3, v3
	;; [unrolled: 1-line block ×4, first 2 shown]
	v_cvt_f32_f16_e32 v92, v2
	v_cvt_f32_f16_e32 v94, v3
	;; [unrolled: 1-line block ×4, first 2 shown]
	v_cvt_pk_f16_f32 v3, v22, v23
	v_cvt_pk_f16_f32 v2, v19, v21
	v_accvgpr_write_b32 a0, v92
	v_accvgpr_write_b32 a1, v94
	;; [unrolled: 1-line block ×4, first 2 shown]
	v_perm_b32 v23, v98, v96, s96
	v_perm_b32 v22, v161, v160, s96
	v_mfma_f32_16x16x16_f16 a[0:3], v[158:159], v[2:3], a[0:3]
	v_cvt_f32_f16_sdwa v98, v119 dst_sel:DWORD dst_unused:UNUSED_PAD src0_sel:WORD_1
	s_nop 6
	v_accvgpr_read_b32 v12, a2
	v_accvgpr_read_b32 v15, a3
	v_cvt_f16_f32_e32 v12, v12
	v_cvt_f16_f32_e32 v15, v15
	v_accvgpr_read_b32 v18, a0
	v_accvgpr_read_b32 v19, a1
	v_accvgpr_write_b32 a2, v36
	v_perm_b32 v12, v15, v12, s96
	v_cvt_f32_f16_e32 v15, v25
	v_cvt_f32_f16_sdwa v25, v25 dst_sel:DWORD dst_unused:UNUSED_PAD src0_sel:WORD_1
	v_accvgpr_write_b32 a3, v24
	v_cvt_f16_f32_e32 v20, v18
	v_accvgpr_write_b32 a0, v15
	v_accvgpr_write_b32 a1, v25
	ds_read_u16 v25, v168 offset:8736
	ds_read_u16 v36, v169 offset:9008
	;; [unrolled: 1-line block ×4, first 2 shown]
	v_mfma_f32_16x16x16_f16 a[0:3], v[22:23], v[4:5], a[0:3]
	v_cvt_f16_f32_e32 v21, v19
	v_perm_b32 v20, v21, v20, s96
	s_nop 5
	v_accvgpr_read_b32 v15, a0
	v_accvgpr_read_b32 v22, a1
	;; [unrolled: 1-line block ×4, first 2 shown]
	v_cvt_f16_f32_e32 v15, v15
	v_cvt_f16_f32_e32 v22, v22
	;; [unrolled: 1-line block ×4, first 2 shown]
	v_cvt_f32_f16_e32 v15, v15
	v_cvt_f32_f16_e32 v94, v22
	;; [unrolled: 1-line block ×4, first 2 shown]
	s_waitcnt lgkmcnt(0)
	v_perm_b32 v23, v92, v77, s96
	v_perm_b32 v22, v36, v25, s96
	v_accvgpr_write_b32 a0, v15
	v_accvgpr_write_b32 a1, v94
	;; [unrolled: 1-line block ×4, first 2 shown]
	v_cvt_f32_f16_e32 v96, v119
	v_cvt_f32_f16_e32 v119, v28
	v_mfma_f32_16x16x16_f16 a[0:3], v[22:23], v[2:3], a[0:3]
	v_cvt_f32_f16_sdwa v28, v28 dst_sel:DWORD dst_unused:UNUSED_PAD src0_sel:WORD_1
	s_nop 6
	v_accvgpr_read_b32 v15, a2
	v_accvgpr_read_b32 v36, a3
	v_cvt_f16_f32_e32 v15, v15
	v_cvt_f16_f32_e32 v36, v36
	v_accvgpr_read_b32 v22, a0
	v_accvgpr_read_b32 v23, a1
	v_accvgpr_write_b32 a0, v96
	v_perm_b32 v15, v36, v15, s96
	ds_read_u16 v36, v168 offset:64
	ds_read_u16 v77, v169 offset:336
	;; [unrolled: 1-line block ×4, first 2 shown]
	v_accvgpr_write_b32 a1, v98
	v_accvgpr_write_b32 a2, v119
	s_waitcnt lgkmcnt(2)
	v_perm_b32 v158, v77, v36, s96
	v_accvgpr_write_b32 a3, v28
	s_waitcnt lgkmcnt(0)
	v_perm_b32 v159, v94, v92, s96
	ds_read_u16 v94, v168 offset:8768
	ds_read_u16 v96, v169 offset:9040
	;; [unrolled: 1-line block ×4, first 2 shown]
	v_mfma_f32_16x16x16_f16 a[0:3], v[158:159], v[4:5], a[0:3]
	s_waitcnt lgkmcnt(0)
	v_perm_b32 v159, v119, v98, s96
	v_perm_b32 v158, v96, v94, s96
	v_cvt_f32_f16_e32 v98, v117
	v_cvt_f32_f16_sdwa v117, v117 dst_sel:DWORD dst_unused:UNUSED_PAD src0_sel:WORD_1
	v_cvt_f16_f32_e32 v24, v22
	s_nop 1
	v_accvgpr_read_b32 v28, a0
	v_accvgpr_read_b32 v36, a1
	;; [unrolled: 1-line block ×4, first 2 shown]
	v_cvt_f16_f32_e32 v28, v28
	v_cvt_f16_f32_e32 v36, v36
	v_cvt_f16_f32_e32 v77, v77
	v_cvt_f16_f32_e32 v92, v92
	v_cvt_f32_f16_e32 v28, v28
	v_cvt_f32_f16_e32 v36, v36
	;; [unrolled: 1-line block ×4, first 2 shown]
	v_accvgpr_write_b32 a0, v28
	v_accvgpr_write_b32 a1, v36
	;; [unrolled: 1-line block ×4, first 2 shown]
	v_cvt_f16_f32_e32 v25, v23
	v_perm_b32 v24, v25, v24, s96
	v_mfma_f32_16x16x16_f16 a[0:3], v[158:159], v[2:3], a[0:3]
	s_nop 7
	v_accvgpr_read_b32 v28, a2
	v_accvgpr_read_b32 v77, a3
	v_cvt_f16_f32_e32 v28, v28
	v_cvt_f16_f32_e32 v77, v77
	v_accvgpr_read_b32 v36, a0
	v_accvgpr_read_b32 v119, a1
	v_accvgpr_write_b32 a0, v98
	v_perm_b32 v28, v77, v28, s96
	ds_read_u16 v77, v168 offset:96
	ds_read_u16 v92, v169 offset:368
	;; [unrolled: 1-line block ×4, first 2 shown]
	v_accvgpr_write_b32 a1, v117
	v_accvgpr_write_b32 a2, v162
	s_waitcnt lgkmcnt(2)
	v_perm_b32 v160, v92, v77, s96
	v_accvgpr_write_b32 a3, v29
	s_waitcnt lgkmcnt(0)
	v_perm_b32 v161, v96, v94, s96
	v_cvt_f16_f32_e32 v158, v36
	v_cvt_f16_f32_e32 v159, v119
	v_mfma_f32_16x16x16_f16 a[0:3], v[160:161], v[4:5], a[0:3]
	ds_read_u16 v96, v168 offset:8800
	ds_read_u16 v98, v169 offset:9072
	;; [unrolled: 1-line block ×4, first 2 shown]
	s_waitcnt lgkmcnt(0)
	v_perm_b32 v161, v160, v117, s96
	s_nop 1
	v_accvgpr_read_b32 v29, a0
	v_accvgpr_read_b32 v77, a1
	;; [unrolled: 1-line block ×4, first 2 shown]
	v_cvt_f16_f32_e32 v29, v29
	v_cvt_f16_f32_e32 v77, v77
	;; [unrolled: 1-line block ×4, first 2 shown]
	v_cvt_f32_f16_e32 v29, v29
	v_cvt_f32_f16_e32 v77, v77
	;; [unrolled: 1-line block ×4, first 2 shown]
	v_perm_b32 v160, v98, v96, s96
	v_accvgpr_write_b32 a0, v29
	v_accvgpr_write_b32 a1, v77
	;; [unrolled: 1-line block ×4, first 2 shown]
	v_cvt_f32_f16_e32 v98, v27
	s_nop 0
	v_mfma_f32_16x16x16_f16 a[0:3], v[160:161], v[2:3], a[0:3]
	s_nop 7
	v_accvgpr_read_b32 v29, a2
	v_accvgpr_read_b32 v77, a3
	v_cvt_f16_f32_e32 v29, v29
	v_cvt_f16_f32_e32 v77, v77
	v_accvgpr_read_b32 v117, a0
	v_accvgpr_read_b32 v160, a1
	v_accvgpr_write_b32 a0, v98
	v_perm_b32 v29, v77, v29, s96
	ds_read_u16 v77, v168 offset:128
	ds_read_u16 v92, v169 offset:400
	;; [unrolled: 1-line block ×4, first 2 shown]
	v_accvgpr_write_b32 a1, v163
	v_accvgpr_write_b32 a2, v164
	s_waitcnt lgkmcnt(2)
	v_perm_b32 v26, v92, v77, s96
	v_accvgpr_write_b32 a3, v165
	s_waitcnt lgkmcnt(0)
	v_perm_b32 v27, v96, v94, s96
	ds_read_u16 v94, v168 offset:8832
	ds_read_u16 v96, v169 offset:9104
	;; [unrolled: 1-line block ×4, first 2 shown]
	v_mfma_f32_16x16x16_f16 a[0:3], v[26:27], v[4:5], a[0:3]
	v_cvt_f16_f32_e32 v161, v117
	v_cvt_f16_f32_e32 v162, v160
	s_nop 5
	v_accvgpr_read_b32 v26, a0
	v_accvgpr_read_b32 v27, a1
	;; [unrolled: 1-line block ×4, first 2 shown]
	v_cvt_f16_f32_e32 v26, v26
	v_cvt_f16_f32_e32 v27, v27
	;; [unrolled: 1-line block ×4, first 2 shown]
	v_cvt_f32_f16_e32 v164, v26
	v_cvt_f32_f16_e32 v165, v27
	;; [unrolled: 1-line block ×4, first 2 shown]
	s_waitcnt lgkmcnt(0)
	v_perm_b32 v27, v163, v98, s96
	v_perm_b32 v26, v96, v94, s96
	v_accvgpr_write_b32 a0, v164
	v_accvgpr_write_b32 a1, v165
	;; [unrolled: 1-line block ×4, first 2 shown]
	v_cvt_f32_f16_e32 v98, v17
	s_nop 0
	v_mfma_f32_16x16x16_f16 a[0:3], v[26:27], v[2:3], a[0:3]
	s_nop 7
	v_accvgpr_read_b32 v26, a2
	v_accvgpr_read_b32 v77, a3
	v_cvt_f16_f32_e32 v26, v26
	v_cvt_f16_f32_e32 v77, v77
	v_accvgpr_read_b32 v27, a0
	v_accvgpr_read_b32 v163, a1
	v_accvgpr_write_b32 a0, v98
	v_perm_b32 v26, v77, v26, s96
	ds_read_u16 v77, v168 offset:160
	ds_read_u16 v92, v169 offset:432
	;; [unrolled: 1-line block ×4, first 2 shown]
	v_accvgpr_write_b32 a1, v198
	v_accvgpr_write_b32 a2, v199
	s_waitcnt lgkmcnt(2)
	v_perm_b32 v16, v92, v77, s96
	v_accvgpr_write_b32 a3, v200
	s_waitcnt lgkmcnt(0)
	v_perm_b32 v17, v96, v94, s96
	ds_read_u16 v94, v168 offset:8864
	ds_read_u16 v96, v169 offset:9136
	;; [unrolled: 1-line block ×4, first 2 shown]
	v_mfma_f32_16x16x16_f16 a[0:3], v[16:17], v[4:5], a[0:3]
	v_cvt_f16_f32_e32 v164, v27
	v_cvt_f16_f32_e32 v165, v163
	s_nop 5
	v_accvgpr_read_b32 v16, a0
	v_accvgpr_read_b32 v17, a1
	;; [unrolled: 1-line block ×4, first 2 shown]
	v_cvt_f16_f32_e32 v16, v16
	v_cvt_f16_f32_e32 v17, v17
	;; [unrolled: 1-line block ×4, first 2 shown]
	v_cvt_f32_f16_e32 v199, v16
	v_cvt_f32_f16_e32 v200, v17
	;; [unrolled: 1-line block ×4, first 2 shown]
	s_waitcnt lgkmcnt(0)
	v_perm_b32 v17, v198, v98, s96
	v_perm_b32 v16, v96, v94, s96
	v_accvgpr_write_b32 a0, v199
	v_accvgpr_write_b32 a1, v200
	;; [unrolled: 1-line block ×4, first 2 shown]
	v_cvt_f32_f16_e32 v98, v14
	v_cvt_f32_f16_sdwa v14, v14 dst_sel:DWORD dst_unused:UNUSED_PAD src0_sel:WORD_1
	v_mfma_f32_16x16x16_f16 a[0:3], v[16:17], v[2:3], a[0:3]
	v_cvt_f32_f16_e32 v199, v13
	v_cvt_f32_f16_sdwa v13, v13 dst_sel:DWORD dst_unused:UNUSED_PAD src0_sel:WORD_1
	s_nop 5
	v_accvgpr_read_b32 v16, a2
	v_accvgpr_read_b32 v77, a3
	v_cvt_f16_f32_e32 v16, v16
	v_cvt_f16_f32_e32 v77, v77
	v_accvgpr_read_b32 v17, a0
	v_accvgpr_read_b32 v198, a1
	v_accvgpr_write_b32 a0, v98
	v_perm_b32 v16, v77, v16, s96
	ds_read_u16 v77, v168 offset:192
	ds_read_u16 v92, v169 offset:464
	ds_read_u16 v94, v170 offset:192
	ds_read_u16 v96, v171 offset:464
	v_accvgpr_write_b32 a1, v14
	v_accvgpr_write_b32 a2, v199
	s_waitcnt lgkmcnt(2)
	v_perm_b32 v208, v92, v77, s96
	v_accvgpr_write_b32 a3, v13
	s_waitcnt lgkmcnt(0)
	v_perm_b32 v209, v96, v94, s96
	ds_read_u16 v94, v168 offset:8896
	ds_read_u16 v96, v169 offset:9168
	;; [unrolled: 1-line block ×4, first 2 shown]
	v_mfma_f32_16x16x16_f16 a[0:3], v[208:209], v[4:5], a[0:3]
	s_waitcnt lgkmcnt(0)
	v_perm_b32 v209, v199, v98, s96
	v_perm_b32 v208, v96, v94, s96
	v_cvt_f32_f16_e32 v199, v11
	v_cvt_f16_f32_e32 v200, v17
	v_cvt_f16_f32_e32 v202, v198
	s_nop 1
	v_accvgpr_read_b32 v13, a0
	v_accvgpr_read_b32 v14, a1
	;; [unrolled: 1-line block ×4, first 2 shown]
	v_cvt_f16_f32_e32 v13, v13
	v_cvt_f16_f32_e32 v14, v14
	;; [unrolled: 1-line block ×4, first 2 shown]
	v_cvt_f32_f16_e32 v13, v13
	v_cvt_f32_f16_e32 v14, v14
	;; [unrolled: 1-line block ×4, first 2 shown]
	v_accvgpr_write_b32 a0, v13
	v_accvgpr_write_b32 a1, v14
	v_accvgpr_write_b32 a2, v77
	v_accvgpr_write_b32 a3, v92
	s_nop 1
	v_mfma_f32_16x16x16_f16 a[0:3], v[208:209], v[2:3], a[0:3]
	v_cvt_f32_f16_sdwa v208, v10 dst_sel:DWORD dst_unused:UNUSED_PAD src0_sel:WORD_1
	s_nop 6
	v_accvgpr_read_b32 v13, a2
	v_accvgpr_read_b32 v92, a3
	v_cvt_f16_f32_e32 v13, v13
	v_cvt_f16_f32_e32 v92, v92
	v_accvgpr_read_b32 v14, a0
	v_accvgpr_read_b32 v77, a1
	v_accvgpr_write_b32 a0, v199
	v_perm_b32 v13, v92, v13, s96
	ds_read_u16 v92, v168 offset:224
	ds_read_u16 v94, v169 offset:496
	;; [unrolled: 1-line block ×4, first 2 shown]
	v_accvgpr_write_b32 a1, v201
	v_accvgpr_write_b32 a2, v203
	s_waitcnt lgkmcnt(2)
	v_perm_b32 v10, v94, v92, s96
	v_accvgpr_write_b32 a3, v208
	s_waitcnt lgkmcnt(0)
	v_perm_b32 v11, v98, v96, s96
	v_cvt_f16_f32_e32 v204, v14
	v_cvt_f16_f32_e32 v206, v77
	v_mfma_f32_16x16x16_f16 a[0:3], v[10:11], v[4:5], a[0:3]
	s_nop 7
	v_accvgpr_read_b32 v11, a3
	v_accvgpr_read_b32 v4, a0
	;; [unrolled: 1-line block ×4, first 2 shown]
	v_cvt_f16_f32_e32 v96, v11
	ds_read_u16 v11, v168 offset:8928
	ds_read_u16 v98, v169 offset:9200
	;; [unrolled: 1-line block ×4, first 2 shown]
	v_cvt_f16_f32_e32 v4, v4
	v_cvt_f16_f32_e32 v5, v5
	;; [unrolled: 1-line block ×3, first 2 shown]
	v_cvt_f32_f16_e32 v96, v96
	v_cvt_f32_f16_e32 v92, v4
	v_cvt_f32_f16_e32 v199, v5
	v_cvt_f32_f16_e32 v10, v10
	s_waitcnt lgkmcnt(0)
	v_perm_b32 v5, v208, v94, s96
	v_perm_b32 v4, v98, v11, s96
	v_accvgpr_write_b32 a0, v92
	v_accvgpr_write_b32 a1, v199
	;; [unrolled: 1-line block ×4, first 2 shown]
	v_perm_b32 v92, v202, v200, s96
	v_perm_b32 v94, v165, v164, s96
	v_mfma_f32_16x16x16_f16 a[0:3], v[4:5], v[2:3], a[0:3]
	v_perm_b32 v96, v162, v161, s96
	v_perm_b32 v98, v159, v158, s96
	s_barrier
	s_nop 4
	v_accvgpr_read_b32 v2, a0
	v_accvgpr_read_b32 v3, a1
	;; [unrolled: 1-line block ×4, first 2 shown]
	v_cvt_f16_f32_e32 v4, v2
	v_cvt_f16_f32_e32 v5, v3
	;; [unrolled: 1-line block ×4, first 2 shown]
	v_perm_b32 v9, v5, v4, s96
	v_perm_b32 v10, v11, v10, s96
	;; [unrolled: 1-line block ×3, first 2 shown]
	s_and_saveexec_b64 s[10:11], s[14:15]
	s_cbranch_execz .LBB0_74
; %bb.73:                               ;   in Loop: Header=BB0_12 Depth=1
	v_lshlrev_b32_e32 v4, 2, v32
	v_readfirstlane_b32 s14, v138
	v_readfirstlane_b32 s15, v139
	v_cvt_pk_f16_f32 v11, v22, v23
	v_cvt_pk_f16_f32 v21, v27, v163
	;; [unrolled: 1-line block ×5, first 2 shown]
	global_load_dword v5, v4, s[14:15]
	v_max_f32_e32 v4, v6, v6
	v_cvt_pk_f16_f32 v19, v117, v160
	v_cvt_pk_f16_f32 v17, v17, v198
	;; [unrolled: 1-line block ×3, first 2 shown]
	s_waitcnt vmcnt(0)
	v_max_f32_e32 v20, v5, v5
	v_max_f32_e32 v4, v4, v20
	v_sub_f32_e32 v6, v6, v4
	v_sub_f32_e32 v5, v5, v4
	v_mul_f32_e32 v20, 0x3fb8aa3b, v6
	v_mul_f32_e32 v22, 0x3fb8aa3b, v5
	v_fma_f32 v23, v6, s47, -v20
	v_rndne_f32_e32 v24, v20
	v_fma_f32 v25, v5, s47, -v22
	v_rndne_f32_e32 v27, v22
	v_fmac_f32_e32 v23, 0x32a5705f, v6
	v_sub_f32_e32 v20, v20, v24
	v_fmac_f32_e32 v25, 0x32a5705f, v5
	v_sub_f32_e32 v22, v22, v27
	v_add_f32_e32 v20, v20, v23
	v_cvt_i32_f32_e32 v24, v24
	v_add_f32_e32 v22, v22, v25
	v_exp_f32_e32 v20, v20
	v_cvt_i32_f32_e32 v27, v27
	v_exp_f32_e32 v22, v22
	v_cmp_ngt_f32_e32 vcc, s69, v6
	v_ldexp_f32 v3, v20, v24
	v_ldexp_f32 v20, v22, v27
	v_cndmask_b32_e32 v3, 0, v3, vcc
	v_cmp_ngt_f32_e32 vcc, s69, v5
	s_nop 1
	v_cndmask_b32_e32 v20, 0, v20, vcc
	v_cmp_nlt_f32_e32 vcc, s94, v6
	s_nop 1
	v_cndmask_b32_e32 v3, v242, v3, vcc
	v_cmp_le_f32_e32 vcc, s95, v6
	s_nop 1
	v_cndmask_b32_e32 v3, 0, v3, vcc
	v_cvt_f16_f32_e32 v6, v3
	v_cmp_nlt_f32_e32 vcc, s94, v5
	s_nop 1
	v_cndmask_b32_e32 v5, v242, v20, vcc
	v_fmac_f32_e32 v5, v7, v3
	v_mul_u32_u24_e32 v3, 0x10001, v6
	v_pk_mul_f16 v20, v9, v3
	v_pk_mul_f16 v12, v12, v3
	v_pk_mul_f16 v24, v11, v3
	v_pk_mul_f16 v15, v15, v3
	v_pk_mul_f16 v98, v18, v3
	v_pk_mul_f16 v28, v28, v3
	v_pk_mul_f16 v96, v19, v3
	v_pk_mul_f16 v29, v29, v3
	v_pk_mul_f16 v94, v21, v3
	v_pk_mul_f16 v26, v26, v3
	v_pk_mul_f16 v92, v17, v3
	v_pk_mul_f16 v16, v16, v3
	v_pk_mul_f16 v11, v14, v3
	v_pk_mul_f16 v13, v13, v3
	v_pk_mul_f16 v9, v2, v3
	v_pk_mul_f16 v10, v10, v3
	v_mov_b64_e32 v[6:7], v[4:5]
.LBB0_74:                               ;   in Loop: Header=BB0_12 Depth=1
	s_or_b64 exec, exec, s[10:11]
	s_and_saveexec_b64 s[10:11], s[6:7]
; %bb.75:                               ;   in Loop: Header=BB0_12 Depth=1
	v_add_u32_e32 v2, 0, v178
	ds_write2_b32 v2, v6, v7 offset0:64 offset1:65
; %bb.76:                               ;   in Loop: Header=BB0_12 Depth=1
	s_or_b64 exec, exec, s[10:11]
	s_waitcnt lgkmcnt(0)
	s_barrier
	s_and_saveexec_b64 s[10:11], s[4:5]
	s_xor_b64 s[10:11], exec, s[10:11]
	s_cbranch_execz .LBB0_78
; %bb.77:                               ;   in Loop: Header=BB0_12 Depth=1
	s_barrier
                                        ; implicit-def: $vgpr8
.LBB0_78:                               ;   in Loop: Header=BB0_12 Depth=1
	s_andn2_saveexec_b64 s[10:11], s[10:11]
	s_cbranch_execz .LBB0_84
; %bb.79:                               ;   in Loop: Header=BB0_12 Depth=1
	v_add_u32_e32 v3, 0, v179
	ds_read_b64 v[6:7], v3 offset:256
	s_waitcnt lgkmcnt(0)
	s_barrier
	ds_bpermute_b32 v2, v8, v6
	v_max_f32_e32 v4, v6, v6
	s_waitcnt lgkmcnt(0)
	v_max_f32_e32 v2, v2, v2
	v_max_f32_e32 v2, v4, v2
	v_sub_f32_e32 v4, v6, v2
	v_mul_f32_e32 v5, 0x3fb8aa3b, v4
	v_fma_f32 v6, v4, s47, -v5
	v_rndne_f32_e32 v14, v5
	v_fmac_f32_e32 v6, 0x32a5705f, v4
	v_sub_f32_e32 v5, v5, v14
	v_add_f32_e32 v5, v5, v6
	v_cvt_i32_f32_e32 v14, v14
	v_exp_f32_e32 v5, v5
	v_cmp_ngt_f32_e32 vcc, s69, v4
	v_ldexp_f32 v5, v5, v14
	s_nop 0
	v_cndmask_b32_e32 v5, 0, v5, vcc
	v_cmp_nlt_f32_e32 vcc, s94, v4
	s_nop 1
	v_cndmask_b32_e32 v4, v242, v5, vcc
	v_mul_f32_e32 v5, v7, v4
	ds_bpermute_b32 v5, v8, v5
	s_waitcnt lgkmcnt(0)
	v_fmac_f32_e32 v5, v7, v4
	s_and_saveexec_b64 s[14:15], s[8:9]
; %bb.80:                               ;   in Loop: Header=BB0_12 Depth=1
	ds_write_b64 v3, v[4:5] offset:256
; %bb.81:                               ;   in Loop: Header=BB0_12 Depth=1
	s_or_b64 exec, exec, s[14:15]
	s_and_saveexec_b64 s[14:15], s[6:7]
	s_cbranch_execz .LBB0_83
; %bb.82:                               ;   in Loop: Header=BB0_12 Depth=1
	v_mov_b32_e32 v3, v5
	global_store_dwordx2 v[50:51], v[2:3], off
.LBB0_83:                               ;   in Loop: Header=BB0_12 Depth=1
	s_or_b64 exec, exec, s[14:15]
.LBB0_84:                               ;   in Loop: Header=BB0_12 Depth=1
	s_or_b64 exec, exec, s[10:11]
	v_add_u32_e32 v2, v105, v180
	ds_write2_b32 v2, v20, v12 offset1:1
	ds_write2_b32 v2, v24, v15 offset0:8 offset1:9
	ds_write2_b32 v2, v98, v28 offset0:16 offset1:17
	;; [unrolled: 1-line block ×7, first 2 shown]
	s_waitcnt lgkmcnt(0)
	s_barrier
	s_and_saveexec_b64 s[76:77], s[12:13]
	s_cbranch_execz .LBB0_162
; %bb.85:                               ;   in Loop: Header=BB0_12 Depth=1
	v_add_u32_e32 v3, v240, v109
	v_or_b32_e32 v2, v70, v107
	v_cmp_gt_i32_e64 s[10:11], s36, v3
	v_cmp_gt_i32_e32 vcc, s3, v2
	s_and_b64 s[14:15], s[10:11], vcc
	v_mov_b32_e32 v2, 0x47
	s_and_saveexec_b64 s[10:11], s[14:15]
	s_cbranch_execz .LBB0_87
; %bb.86:                               ;   in Loop: Header=BB0_12 Depth=1
	v_mad_u64_u32 v[2:3], s[14:15], v3, s37, v[70:71]
	v_add_u32_e32 v3, v89, v65
	ds_read2st64_b32 v[4:5], v3 offset1:17
	v_add_u32_e32 v3, 0, v65
	ds_read2st64_b32 v[6:7], v3 offset0:1 offset1:18
	v_lshl_add_u32 v2, v2, 6, v30
	v_ashrrev_i32_e32 v3, 31, v2
	s_waitcnt lgkmcnt(1)
	v_cvt_f32_f16_e32 v8, v4
	v_cvt_f32_f16_sdwa v9, v4 dst_sel:DWORD dst_unused:UNUSED_PAD src0_sel:WORD_1
	v_cvt_f32_f16_e32 v4, v5
	v_cvt_f32_f16_sdwa v5, v5 dst_sel:DWORD dst_unused:UNUSED_PAD src0_sel:WORD_1
	v_lshl_add_u64 v[2:3], v[2:3], 3, v[136:137]
	s_waitcnt lgkmcnt(0)
	v_pk_fma_f32 v[8:9], v[6:7], v[8:9], 0 op_sel_hi:[0,1,0]
	v_mov_b32_e32 v6, v7
	v_pk_fma_f32 v[4:5], v[6:7], v[4:5], v[8:9] op_sel_hi:[0,1,1]
	global_store_dwordx2 v[2:3], v[4:5], off
	v_mov_b32_e32 v2, 0
.LBB0_87:                               ;   in Loop: Header=BB0_12 Depth=1
	s_or_b64 exec, exec, s[10:11]
	v_cmp_gt_i32_e64 s[10:11], s97, v2
	s_mov_b64 s[14:15], -1
	s_and_saveexec_b64 s[78:79], s[10:11]
; %bb.88:                               ;   in Loop: Header=BB0_12 Depth=1
	v_cmp_eq_u32_e64 s[10:11], 0, v2
	s_orn2_b64 s[14:15], s[10:11], exec
; %bb.89:                               ;   in Loop: Header=BB0_12 Depth=1
	s_or_b64 exec, exec, s[78:79]
	s_and_b64 exec, exec, s[14:15]
	s_cbranch_execz .LBB0_162
; %bb.90:                               ;   in Loop: Header=BB0_12 Depth=1
	v_add_u32_e32 v3, v67, v109
	v_or_b32_e32 v2, v72, v107
	v_cmp_gt_i32_e64 s[10:11], s36, v3
	v_cmp_gt_i32_e64 s[14:15], s3, v2
	s_and_b64 s[14:15], s[10:11], s[14:15]
	v_mov_b32_e32 v2, 0x47
	s_and_saveexec_b64 s[10:11], s[14:15]
	s_cbranch_execz .LBB0_92
; %bb.91:                               ;   in Loop: Header=BB0_12 Depth=1
	v_mad_u64_u32 v[2:3], s[14:15], v3, s37, v[72:73]
	v_add_u32_e32 v3, v89, v69
	ds_read2st64_b32 v[4:5], v3 offset1:17
	v_add_u32_e32 v3, 0, v69
	ds_read2st64_b32 v[6:7], v3 offset0:1 offset1:18
	v_lshl_add_u32 v2, v2, 6, v30
	v_ashrrev_i32_e32 v3, 31, v2
	s_waitcnt lgkmcnt(1)
	v_cvt_f32_f16_e32 v8, v4
	v_cvt_f32_f16_sdwa v9, v4 dst_sel:DWORD dst_unused:UNUSED_PAD src0_sel:WORD_1
	v_cvt_f32_f16_e32 v4, v5
	v_cvt_f32_f16_sdwa v5, v5 dst_sel:DWORD dst_unused:UNUSED_PAD src0_sel:WORD_1
	v_lshl_add_u64 v[2:3], v[2:3], 3, v[136:137]
	s_waitcnt lgkmcnt(0)
	v_pk_fma_f32 v[8:9], v[6:7], v[8:9], 0 op_sel_hi:[0,1,0]
	v_mov_b32_e32 v6, v7
	v_pk_fma_f32 v[4:5], v[6:7], v[4:5], v[8:9] op_sel_hi:[0,1,1]
	global_store_dwordx2 v[2:3], v[4:5], off
	v_mov_b32_e32 v2, 0
.LBB0_92:                               ;   in Loop: Header=BB0_12 Depth=1
	s_or_b64 exec, exec, s[10:11]
	v_cmp_gt_i32_e64 s[10:11], s97, v2
	s_mov_b64 s[14:15], -1
	s_and_saveexec_b64 s[78:79], s[10:11]
; %bb.93:                               ;   in Loop: Header=BB0_12 Depth=1
	v_cmp_eq_u32_e64 s[10:11], 0, v2
	s_orn2_b64 s[14:15], s[10:11], exec
; %bb.94:                               ;   in Loop: Header=BB0_12 Depth=1
	s_or_b64 exec, exec, s[78:79]
	s_and_b64 exec, exec, s[14:15]
	s_cbranch_execz .LBB0_162
; %bb.95:                               ;   in Loop: Header=BB0_12 Depth=1
	v_add_u32_e32 v3, v191, v109
	v_or_b32_e32 v2, v74, v107
	v_cmp_gt_i32_e64 s[10:11], s36, v3
	v_cmp_gt_i32_e64 s[14:15], s3, v2
	s_and_b64 s[14:15], s[10:11], s[14:15]
	v_mov_b32_e32 v2, 0x47
	s_and_saveexec_b64 s[10:11], s[14:15]
	s_cbranch_execz .LBB0_97
; %bb.96:                               ;   in Loop: Header=BB0_12 Depth=1
	v_mad_u64_u32 v[2:3], s[14:15], v3, s37, v[74:75]
	v_add_u32_e32 v3, v89, v192
	ds_read2st64_b32 v[4:5], v3 offset1:17
	v_add_u32_e32 v3, 0, v192
	ds_read2st64_b32 v[6:7], v3 offset0:1 offset1:18
	v_lshl_add_u32 v2, v2, 6, v30
	v_ashrrev_i32_e32 v3, 31, v2
	s_waitcnt lgkmcnt(1)
	v_cvt_f32_f16_e32 v8, v4
	v_cvt_f32_f16_sdwa v9, v4 dst_sel:DWORD dst_unused:UNUSED_PAD src0_sel:WORD_1
	v_cvt_f32_f16_e32 v4, v5
	v_cvt_f32_f16_sdwa v5, v5 dst_sel:DWORD dst_unused:UNUSED_PAD src0_sel:WORD_1
	v_lshl_add_u64 v[2:3], v[2:3], 3, v[136:137]
	s_waitcnt lgkmcnt(0)
	v_pk_fma_f32 v[8:9], v[6:7], v[8:9], 0 op_sel_hi:[0,1,0]
	v_mov_b32_e32 v6, v7
	v_pk_fma_f32 v[4:5], v[6:7], v[4:5], v[8:9] op_sel_hi:[0,1,1]
	global_store_dwordx2 v[2:3], v[4:5], off
	v_mov_b32_e32 v2, 0
.LBB0_97:                               ;   in Loop: Header=BB0_12 Depth=1
	s_or_b64 exec, exec, s[10:11]
	v_cmp_gt_i32_e64 s[10:11], s97, v2
	s_mov_b64 s[14:15], -1
	s_and_saveexec_b64 s[78:79], s[10:11]
; %bb.98:                               ;   in Loop: Header=BB0_12 Depth=1
	v_cmp_eq_u32_e64 s[10:11], 0, v2
	s_orn2_b64 s[14:15], s[10:11], exec
; %bb.99:                               ;   in Loop: Header=BB0_12 Depth=1
	s_or_b64 exec, exec, s[78:79]
	s_and_b64 exec, exec, s[14:15]
	s_cbranch_execz .LBB0_162
; %bb.100:                              ;   in Loop: Header=BB0_12 Depth=1
	v_add_u32_e32 v3, v193, v109
	v_or_b32_e32 v2, v76, v107
	v_cmp_gt_i32_e64 s[10:11], s36, v3
	v_cmp_gt_i32_e64 s[14:15], s3, v2
	s_and_b64 s[14:15], s[10:11], s[14:15]
	v_mov_b32_e32 v2, 0x47
	s_and_saveexec_b64 s[10:11], s[14:15]
	s_cbranch_execz .LBB0_102
; %bb.101:                              ;   in Loop: Header=BB0_12 Depth=1
	v_mad_u64_u32 v[2:3], s[14:15], v3, s37, v[76:77]
	v_add_u32_e32 v3, v89, v194
	ds_read2st64_b32 v[4:5], v3 offset1:17
	v_add_u32_e32 v3, 0, v194
	ds_read2st64_b32 v[6:7], v3 offset0:1 offset1:18
	v_lshl_add_u32 v2, v2, 6, v30
	v_ashrrev_i32_e32 v3, 31, v2
	s_waitcnt lgkmcnt(1)
	v_cvt_f32_f16_e32 v8, v4
	v_cvt_f32_f16_sdwa v9, v4 dst_sel:DWORD dst_unused:UNUSED_PAD src0_sel:WORD_1
	v_cvt_f32_f16_e32 v4, v5
	v_cvt_f32_f16_sdwa v5, v5 dst_sel:DWORD dst_unused:UNUSED_PAD src0_sel:WORD_1
	v_lshl_add_u64 v[2:3], v[2:3], 3, v[136:137]
	s_waitcnt lgkmcnt(0)
	v_pk_fma_f32 v[8:9], v[6:7], v[8:9], 0 op_sel_hi:[0,1,0]
	v_mov_b32_e32 v6, v7
	v_pk_fma_f32 v[4:5], v[6:7], v[4:5], v[8:9] op_sel_hi:[0,1,1]
	global_store_dwordx2 v[2:3], v[4:5], off
	v_mov_b32_e32 v2, 0
.LBB0_102:                              ;   in Loop: Header=BB0_12 Depth=1
	s_or_b64 exec, exec, s[10:11]
	v_cmp_gt_i32_e64 s[10:11], s97, v2
	s_mov_b64 s[14:15], -1
	s_and_saveexec_b64 s[78:79], s[10:11]
; %bb.103:                              ;   in Loop: Header=BB0_12 Depth=1
	v_cmp_eq_u32_e64 s[10:11], 0, v2
	s_orn2_b64 s[14:15], s[10:11], exec
; %bb.104:                              ;   in Loop: Header=BB0_12 Depth=1
	s_or_b64 exec, exec, s[78:79]
	s_and_b64 exec, exec, s[14:15]
	s_cbranch_execz .LBB0_162
; %bb.105:                              ;   in Loop: Header=BB0_12 Depth=1
	v_add_u32_e32 v3, v195, v109
	v_or_b32_e32 v2, v78, v107
	v_cmp_gt_i32_e64 s[10:11], s36, v3
	v_cmp_gt_i32_e64 s[14:15], s3, v2
	s_and_b64 s[14:15], s[10:11], s[14:15]
	v_mov_b32_e32 v2, 0x47
	s_and_saveexec_b64 s[10:11], s[14:15]
	s_cbranch_execz .LBB0_107
; %bb.106:                              ;   in Loop: Header=BB0_12 Depth=1
	v_mad_u64_u32 v[2:3], s[14:15], v3, s37, v[78:79]
	v_add_u32_e32 v3, v89, v196
	ds_read2st64_b32 v[4:5], v3 offset1:17
	v_add_u32_e32 v3, 0, v196
	ds_read2st64_b32 v[6:7], v3 offset0:1 offset1:18
	v_lshl_add_u32 v2, v2, 6, v30
	v_ashrrev_i32_e32 v3, 31, v2
	s_waitcnt lgkmcnt(1)
	v_cvt_f32_f16_e32 v8, v4
	v_cvt_f32_f16_sdwa v9, v4 dst_sel:DWORD dst_unused:UNUSED_PAD src0_sel:WORD_1
	v_cvt_f32_f16_e32 v4, v5
	v_cvt_f32_f16_sdwa v5, v5 dst_sel:DWORD dst_unused:UNUSED_PAD src0_sel:WORD_1
	v_lshl_add_u64 v[2:3], v[2:3], 3, v[136:137]
	s_waitcnt lgkmcnt(0)
	v_pk_fma_f32 v[8:9], v[6:7], v[8:9], 0 op_sel_hi:[0,1,0]
	v_mov_b32_e32 v6, v7
	v_pk_fma_f32 v[4:5], v[6:7], v[4:5], v[8:9] op_sel_hi:[0,1,1]
	global_store_dwordx2 v[2:3], v[4:5], off
	v_mov_b32_e32 v2, 0
.LBB0_107:                              ;   in Loop: Header=BB0_12 Depth=1
	s_or_b64 exec, exec, s[10:11]
	v_cmp_gt_i32_e64 s[10:11], s97, v2
	s_mov_b64 s[14:15], -1
	s_and_saveexec_b64 s[78:79], s[10:11]
; %bb.108:                              ;   in Loop: Header=BB0_12 Depth=1
	v_cmp_eq_u32_e64 s[10:11], 0, v2
	s_orn2_b64 s[14:15], s[10:11], exec
; %bb.109:                              ;   in Loop: Header=BB0_12 Depth=1
	s_or_b64 exec, exec, s[78:79]
	s_and_b64 exec, exec, s[14:15]
	s_cbranch_execz .LBB0_162
; %bb.110:                              ;   in Loop: Header=BB0_12 Depth=1
	v_add_u32_e32 v3, v197, v109
	v_or_b32_e32 v2, v80, v107
	v_cmp_gt_i32_e64 s[10:11], s36, v3
	v_cmp_gt_i32_e64 s[14:15], s3, v2
	s_and_b64 s[14:15], s[10:11], s[14:15]
	v_mov_b32_e32 v2, 0x47
	s_and_saveexec_b64 s[10:11], s[14:15]
	s_cbranch_execz .LBB0_112
; %bb.111:                              ;   in Loop: Header=BB0_12 Depth=1
	v_mad_u64_u32 v[2:3], s[14:15], v3, s37, v[80:81]
	v_accvgpr_read_b32 v6, a9
	v_add_u32_e32 v3, v89, v6
	ds_read2st64_b32 v[4:5], v3 offset1:17
	v_add_u32_e32 v3, 0, v6
	ds_read2st64_b32 v[6:7], v3 offset0:1 offset1:18
	v_lshl_add_u32 v2, v2, 6, v30
	v_ashrrev_i32_e32 v3, 31, v2
	s_waitcnt lgkmcnt(1)
	v_cvt_f32_f16_e32 v8, v4
	v_cvt_f32_f16_sdwa v9, v4 dst_sel:DWORD dst_unused:UNUSED_PAD src0_sel:WORD_1
	v_cvt_f32_f16_e32 v4, v5
	v_cvt_f32_f16_sdwa v5, v5 dst_sel:DWORD dst_unused:UNUSED_PAD src0_sel:WORD_1
	v_lshl_add_u64 v[2:3], v[2:3], 3, v[136:137]
	s_waitcnt lgkmcnt(0)
	v_pk_fma_f32 v[8:9], v[6:7], v[8:9], 0 op_sel_hi:[0,1,0]
	v_mov_b32_e32 v6, v7
	v_pk_fma_f32 v[4:5], v[6:7], v[4:5], v[8:9] op_sel_hi:[0,1,1]
	global_store_dwordx2 v[2:3], v[4:5], off
	v_mov_b32_e32 v2, 0
.LBB0_112:                              ;   in Loop: Header=BB0_12 Depth=1
	s_or_b64 exec, exec, s[10:11]
	v_cmp_gt_i32_e64 s[10:11], s97, v2
	s_mov_b64 s[14:15], -1
	s_and_saveexec_b64 s[78:79], s[10:11]
; %bb.113:                              ;   in Loop: Header=BB0_12 Depth=1
	v_cmp_eq_u32_e64 s[10:11], 0, v2
	s_orn2_b64 s[14:15], s[10:11], exec
; %bb.114:                              ;   in Loop: Header=BB0_12 Depth=1
	s_or_b64 exec, exec, s[78:79]
	s_and_b64 exec, exec, s[14:15]
	s_cbranch_execz .LBB0_162
; %bb.115:                              ;   in Loop: Header=BB0_12 Depth=1
	v_add_u32_e32 v3, v88, v109
	v_or_b32_e32 v2, v82, v107
	v_cmp_gt_i32_e64 s[10:11], s36, v3
	v_cmp_gt_i32_e64 s[14:15], s3, v2
	s_and_b64 s[14:15], s[10:11], s[14:15]
	v_mov_b32_e32 v2, 0x47
	s_and_saveexec_b64 s[10:11], s[14:15]
	s_cbranch_execz .LBB0_117
; %bb.116:                              ;   in Loop: Header=BB0_12 Depth=1
	v_mad_u64_u32 v[2:3], s[14:15], v3, s37, v[82:83]
	v_accvgpr_read_b32 v6, a10
	v_add_u32_e32 v3, v89, v6
	ds_read2st64_b32 v[4:5], v3 offset1:17
	v_add_u32_e32 v3, 0, v6
	ds_read2st64_b32 v[6:7], v3 offset0:1 offset1:18
	v_lshl_add_u32 v2, v2, 6, v30
	v_ashrrev_i32_e32 v3, 31, v2
	s_waitcnt lgkmcnt(1)
	v_cvt_f32_f16_e32 v8, v4
	v_cvt_f32_f16_sdwa v9, v4 dst_sel:DWORD dst_unused:UNUSED_PAD src0_sel:WORD_1
	v_cvt_f32_f16_e32 v4, v5
	v_cvt_f32_f16_sdwa v5, v5 dst_sel:DWORD dst_unused:UNUSED_PAD src0_sel:WORD_1
	v_lshl_add_u64 v[2:3], v[2:3], 3, v[136:137]
	s_waitcnt lgkmcnt(0)
	v_pk_fma_f32 v[8:9], v[6:7], v[8:9], 0 op_sel_hi:[0,1,0]
	v_mov_b32_e32 v6, v7
	v_pk_fma_f32 v[4:5], v[6:7], v[4:5], v[8:9] op_sel_hi:[0,1,1]
	global_store_dwordx2 v[2:3], v[4:5], off
	v_mov_b32_e32 v2, 0
.LBB0_117:                              ;   in Loop: Header=BB0_12 Depth=1
	;; [unrolled: 42-line block ×3, first 2 shown]
	s_or_b64 exec, exec, s[10:11]
	v_cmp_gt_i32_e64 s[10:11], s97, v2
	s_mov_b64 s[14:15], -1
	s_and_saveexec_b64 s[78:79], s[10:11]
; %bb.123:                              ;   in Loop: Header=BB0_12 Depth=1
	v_cmp_eq_u32_e64 s[10:11], 0, v2
	s_orn2_b64 s[14:15], s[10:11], exec
; %bb.124:                              ;   in Loop: Header=BB0_12 Depth=1
	s_or_b64 exec, exec, s[78:79]
	s_and_b64 exec, exec, s[14:15]
	s_cbranch_execz .LBB0_162
; %bb.125:                              ;   in Loop: Header=BB0_12 Depth=1
	v_add_u32_e32 v3, v90, v109
	v_cmp_gt_i32_e64 s[10:11], s36, v3
	s_and_b64 s[14:15], s[10:11], vcc
	v_mov_b32_e32 v2, 0x47
	s_and_saveexec_b64 s[10:11], s[14:15]
	s_cbranch_execz .LBB0_127
; %bb.126:                              ;   in Loop: Header=BB0_12 Depth=1
	v_mad_u64_u32 v[2:3], s[14:15], v3, s37, v[70:71]
	v_accvgpr_read_b32 v6, a12
	v_add_u32_e32 v3, v89, v6
	ds_read2st64_b32 v[4:5], v3 offset1:17
	v_add_u32_e32 v3, 0, v6
	ds_read2st64_b32 v[6:7], v3 offset0:1 offset1:18
	v_lshl_add_u32 v2, v2, 6, v30
	v_ashrrev_i32_e32 v3, 31, v2
	s_waitcnt lgkmcnt(1)
	v_cvt_f32_f16_e32 v8, v4
	v_cvt_f32_f16_sdwa v9, v4 dst_sel:DWORD dst_unused:UNUSED_PAD src0_sel:WORD_1
	v_cvt_f32_f16_e32 v4, v5
	v_cvt_f32_f16_sdwa v5, v5 dst_sel:DWORD dst_unused:UNUSED_PAD src0_sel:WORD_1
	v_lshl_add_u64 v[2:3], v[2:3], 3, v[136:137]
	s_waitcnt lgkmcnt(0)
	v_pk_fma_f32 v[8:9], v[6:7], v[8:9], 0 op_sel_hi:[0,1,0]
	v_mov_b32_e32 v6, v7
	v_pk_fma_f32 v[4:5], v[6:7], v[4:5], v[8:9] op_sel_hi:[0,1,1]
	global_store_dwordx2 v[2:3], v[4:5], off
	v_mov_b32_e32 v2, 0
.LBB0_127:                              ;   in Loop: Header=BB0_12 Depth=1
	s_or_b64 exec, exec, s[10:11]
	v_cmp_gt_i32_e32 vcc, s97, v2
	s_mov_b64 s[10:11], -1
	s_and_saveexec_b64 s[14:15], vcc
; %bb.128:                              ;   in Loop: Header=BB0_12 Depth=1
	v_cmp_eq_u32_e32 vcc, 0, v2
	s_orn2_b64 s[10:11], vcc, exec
; %bb.129:                              ;   in Loop: Header=BB0_12 Depth=1
	s_or_b64 exec, exec, s[14:15]
	s_and_b64 exec, exec, s[10:11]
	s_cbranch_execz .LBB0_162
; %bb.130:                              ;   in Loop: Header=BB0_12 Depth=1
	v_add_u32_e32 v3, v205, v109
	v_or_b32_e32 v2, v86, v107
	v_cmp_gt_i32_e32 vcc, s36, v3
	v_cmp_gt_i32_e64 s[10:11], s3, v2
	s_and_b64 s[14:15], vcc, s[10:11]
	v_mov_b32_e32 v2, 0x47
	s_and_saveexec_b64 s[10:11], s[14:15]
	s_cbranch_execz .LBB0_132
; %bb.131:                              ;   in Loop: Header=BB0_12 Depth=1
	v_mad_u64_u32 v[2:3], s[14:15], v3, s37, v[86:87]
	v_accvgpr_read_b32 v6, a13
	v_add_u32_e32 v3, v89, v6
	ds_read2st64_b32 v[4:5], v3 offset1:17
	v_add_u32_e32 v3, 0, v6
	ds_read2st64_b32 v[6:7], v3 offset0:1 offset1:18
	v_lshl_add_u32 v2, v2, 6, v30
	v_ashrrev_i32_e32 v3, 31, v2
	s_waitcnt lgkmcnt(1)
	v_cvt_f32_f16_e32 v8, v4
	v_cvt_f32_f16_sdwa v9, v4 dst_sel:DWORD dst_unused:UNUSED_PAD src0_sel:WORD_1
	v_cvt_f32_f16_e32 v4, v5
	v_cvt_f32_f16_sdwa v5, v5 dst_sel:DWORD dst_unused:UNUSED_PAD src0_sel:WORD_1
	v_lshl_add_u64 v[2:3], v[2:3], 3, v[136:137]
	s_waitcnt lgkmcnt(0)
	v_pk_fma_f32 v[8:9], v[6:7], v[8:9], 0 op_sel_hi:[0,1,0]
	v_mov_b32_e32 v6, v7
	v_pk_fma_f32 v[4:5], v[6:7], v[4:5], v[8:9] op_sel_hi:[0,1,1]
	global_store_dwordx2 v[2:3], v[4:5], off
	v_mov_b32_e32 v2, 0
.LBB0_132:                              ;   in Loop: Header=BB0_12 Depth=1
	s_or_b64 exec, exec, s[10:11]
	v_cmp_gt_i32_e32 vcc, s97, v2
	s_mov_b64 s[10:11], -1
	s_and_saveexec_b64 s[14:15], vcc
; %bb.133:                              ;   in Loop: Header=BB0_12 Depth=1
	v_cmp_eq_u32_e32 vcc, 0, v2
	s_orn2_b64 s[10:11], vcc, exec
; %bb.134:                              ;   in Loop: Header=BB0_12 Depth=1
	s_or_b64 exec, exec, s[14:15]
	s_and_b64 exec, exec, s[10:11]
	s_cbranch_execz .LBB0_162
; %bb.135:                              ;   in Loop: Header=BB0_12 Depth=1
	v_accvgpr_read_b32 v2, a14
	v_add_u32_e32 v3, v2, v109
	v_accvgpr_read_b32 v2, a16
	v_or_b32_e32 v2, v2, v107
	v_cmp_gt_i32_e32 vcc, s36, v3
	v_cmp_gt_i32_e64 s[10:11], s3, v2
	s_and_b64 s[14:15], vcc, s[10:11]
	v_mov_b32_e32 v2, 0x47
	s_and_saveexec_b64 s[10:11], s[14:15]
	s_cbranch_execz .LBB0_137
; %bb.136:                              ;   in Loop: Header=BB0_12 Depth=1
	v_accvgpr_read_b32 v2, a16
	v_mad_u64_u32 v[2:3], s[14:15], v3, s37, v[2:3]
	v_accvgpr_read_b32 v6, a15
	v_add_u32_e32 v3, v89, v6
	ds_read2st64_b32 v[4:5], v3 offset1:17
	v_add_u32_e32 v3, 0, v6
	ds_read2st64_b32 v[6:7], v3 offset0:1 offset1:18
	v_lshl_add_u32 v2, v2, 6, v30
	v_ashrrev_i32_e32 v3, 31, v2
	s_waitcnt lgkmcnt(1)
	v_cvt_f32_f16_e32 v8, v4
	v_cvt_f32_f16_sdwa v9, v4 dst_sel:DWORD dst_unused:UNUSED_PAD src0_sel:WORD_1
	v_cvt_f32_f16_e32 v4, v5
	v_cvt_f32_f16_sdwa v5, v5 dst_sel:DWORD dst_unused:UNUSED_PAD src0_sel:WORD_1
	v_lshl_add_u64 v[2:3], v[2:3], 3, v[136:137]
	s_waitcnt lgkmcnt(0)
	v_pk_fma_f32 v[8:9], v[6:7], v[8:9], 0 op_sel_hi:[0,1,0]
	v_mov_b32_e32 v6, v7
	v_pk_fma_f32 v[4:5], v[6:7], v[4:5], v[8:9] op_sel_hi:[0,1,1]
	global_store_dwordx2 v[2:3], v[4:5], off
	v_mov_b32_e32 v2, 0
.LBB0_137:                              ;   in Loop: Header=BB0_12 Depth=1
	s_or_b64 exec, exec, s[10:11]
	v_cmp_gt_i32_e32 vcc, s97, v2
	s_mov_b64 s[10:11], -1
	s_and_saveexec_b64 s[14:15], vcc
; %bb.138:                              ;   in Loop: Header=BB0_12 Depth=1
	v_cmp_eq_u32_e32 vcc, 0, v2
	s_orn2_b64 s[10:11], vcc, exec
; %bb.139:                              ;   in Loop: Header=BB0_12 Depth=1
	s_or_b64 exec, exec, s[14:15]
	s_and_b64 exec, exec, s[10:11]
	s_cbranch_execz .LBB0_162
; %bb.140:                              ;   in Loop: Header=BB0_12 Depth=1
	v_accvgpr_read_b32 v2, a17
	v_add_u32_e32 v3, v2, v109
	v_accvgpr_read_b32 v2, a18
	v_or_b32_e32 v2, v2, v107
	v_cmp_gt_i32_e32 vcc, s36, v3
	v_cmp_gt_i32_e64 s[10:11], s3, v2
	s_and_b64 s[14:15], vcc, s[10:11]
	v_mov_b32_e32 v2, 0x47
	s_and_saveexec_b64 s[10:11], s[14:15]
	s_cbranch_execz .LBB0_142
; %bb.141:                              ;   in Loop: Header=BB0_12 Depth=1
	v_accvgpr_read_b32 v2, a18
	v_mad_u64_u32 v[2:3], s[14:15], v3, s37, v[2:3]
	v_accvgpr_read_b32 v6, a19
	v_add_u32_e32 v3, v89, v6
	ds_read2st64_b32 v[4:5], v3 offset1:17
	v_add_u32_e32 v3, 0, v6
	ds_read2st64_b32 v[6:7], v3 offset0:1 offset1:18
	v_lshl_add_u32 v2, v2, 6, v30
	v_ashrrev_i32_e32 v3, 31, v2
	s_waitcnt lgkmcnt(1)
	v_cvt_f32_f16_e32 v8, v4
	v_cvt_f32_f16_sdwa v9, v4 dst_sel:DWORD dst_unused:UNUSED_PAD src0_sel:WORD_1
	v_cvt_f32_f16_e32 v4, v5
	v_cvt_f32_f16_sdwa v5, v5 dst_sel:DWORD dst_unused:UNUSED_PAD src0_sel:WORD_1
	v_lshl_add_u64 v[2:3], v[2:3], 3, v[136:137]
	s_waitcnt lgkmcnt(0)
	v_pk_fma_f32 v[8:9], v[6:7], v[8:9], 0 op_sel_hi:[0,1,0]
	v_mov_b32_e32 v6, v7
	v_pk_fma_f32 v[4:5], v[6:7], v[4:5], v[8:9] op_sel_hi:[0,1,1]
	global_store_dwordx2 v[2:3], v[4:5], off
	v_mov_b32_e32 v2, 0
.LBB0_142:                              ;   in Loop: Header=BB0_12 Depth=1
	;; [unrolled: 45-line block ×5, first 2 shown]
	s_or_b64 exec, exec, s[10:11]
	v_cmp_gt_i32_e32 vcc, s97, v2
	s_mov_b64 s[10:11], -1
	s_and_saveexec_b64 s[14:15], vcc
; %bb.158:                              ;   in Loop: Header=BB0_12 Depth=1
	v_cmp_eq_u32_e32 vcc, 0, v2
	s_orn2_b64 s[10:11], vcc, exec
; %bb.159:                              ;   in Loop: Header=BB0_12 Depth=1
	s_or_b64 exec, exec, s[14:15]
	s_and_b64 exec, exec, s[10:11]
	s_cbranch_execz .LBB0_162
; %bb.160:                              ;   in Loop: Header=BB0_12 Depth=1
	v_accvgpr_read_b32 v2, a29
	v_accvgpr_read_b32 v4, a30
	v_add_u32_e32 v2, v2, v109
	v_or_b32_e32 v3, v4, v107
	v_cmp_gt_i32_e32 vcc, s36, v2
	v_cmp_gt_i32_e64 s[10:11], s3, v3
	s_and_b64 s[10:11], vcc, s[10:11]
	s_and_b64 exec, exec, s[10:11]
	s_cbranch_execz .LBB0_162
; %bb.161:                              ;   in Loop: Header=BB0_12 Depth=1
	v_accvgpr_read_b32 v4, a30
	v_mad_u64_u32 v[2:3], s[10:11], v2, s37, v[4:5]
	v_accvgpr_read_b32 v6, a31
	v_add_u32_e32 v3, v89, v6
	ds_read2st64_b32 v[4:5], v3 offset1:17
	v_add_u32_e32 v3, 0, v6
	ds_read2st64_b32 v[6:7], v3 offset0:1 offset1:18
	v_lshl_add_u32 v2, v2, 6, v30
	v_ashrrev_i32_e32 v3, 31, v2
	s_waitcnt lgkmcnt(1)
	v_cvt_f32_f16_e32 v8, v4
	v_cvt_f32_f16_sdwa v9, v4 dst_sel:DWORD dst_unused:UNUSED_PAD src0_sel:WORD_1
	v_cvt_f32_f16_e32 v4, v5
	v_cvt_f32_f16_sdwa v5, v5 dst_sel:DWORD dst_unused:UNUSED_PAD src0_sel:WORD_1
	v_lshl_add_u64 v[2:3], v[2:3], 3, v[136:137]
	s_waitcnt lgkmcnt(0)
	v_pk_fma_f32 v[8:9], v[6:7], v[8:9], 0 op_sel_hi:[0,1,0]
	v_mov_b32_e32 v6, v7
	v_pk_fma_f32 v[4:5], v[6:7], v[4:5], v[8:9] op_sel_hi:[0,1,1]
	global_store_dwordx2 v[2:3], v[4:5], off
.LBB0_162:                              ;   in Loop: Header=BB0_12 Depth=1
	s_or_b64 exec, exec, s[76:77]
	s_barrier
	s_branch .LBB0_11
.LBB0_163:                              ;   in Loop: Header=BB0_12 Depth=1
	v_cmp_le_i32_e64 s[10:11], s36, v113
	v_cmp_le_i32_e64 s[14:15], s3, v115
	v_cmp_gt_i32_e32 vcc, s3, v115
	s_or_b64 s[10:11], s[10:11], s[14:15]
	s_and_saveexec_b64 s[14:15], s[10:11]
	s_xor_b64 s[10:11], exec, s[14:15]
; %bb.164:                              ;   in Loop: Header=BB0_12 Depth=1
	v_add_u32_e32 v2, v89, v223
	ds_write_b32 v2, v37
                                        ; implicit-def: $vgpr113
; %bb.165:                              ;   in Loop: Header=BB0_12 Depth=1
	s_andn2_saveexec_b64 s[10:11], s[10:11]
	s_cbranch_execz .LBB0_167
; %bb.166:                              ;   in Loop: Header=BB0_12 Depth=1
	v_mad_u64_u32 v[2:3], s[14:15], v113, s57, v[106:107]
	v_ashrrev_i32_e32 v3, 31, v2
	v_lshl_add_u64 v[2:3], v[2:3], 3, v[152:153]
	global_load_dwordx2 v[2:3], v[2:3], off
	s_waitcnt vmcnt(0)
	v_cvt_pk_f16_f32 v2, v2, v3
	v_pk_mul_f16 v2, v2, v219
	v_add_u32_e32 v3, v89, v223
	ds_write_b32 v3, v2
.LBB0_167:                              ;   in Loop: Header=BB0_12 Depth=1
	s_or_b64 exec, exec, s[10:11]
	v_add_u32_e32 v2, v224, v109
	v_or_b32_e32 v3, v225, v107
	v_cmp_le_i32_e64 s[10:11], s36, v2
	v_cmp_le_i32_e64 s[14:15], s3, v3
	s_or_b64 s[10:11], s[10:11], s[14:15]
	s_and_saveexec_b64 s[14:15], s[10:11]
	s_xor_b64 s[10:11], exec, s[14:15]
; %bb.168:                              ;   in Loop: Header=BB0_12 Depth=1
	v_add_u32_e32 v2, v89, v223
	ds_write_b32 v2, v37 offset:1600
                                        ; implicit-def: $vgpr2
; %bb.169:                              ;   in Loop: Header=BB0_12 Depth=1
	s_andn2_saveexec_b64 s[10:11], s[10:11]
	s_cbranch_execz .LBB0_171
; %bb.170:                              ;   in Loop: Header=BB0_12 Depth=1
	v_mad_u64_u32 v[2:3], s[14:15], v2, s57, v[108:109]
	v_ashrrev_i32_e32 v3, 31, v2
	v_lshl_add_u64 v[2:3], v[2:3], 3, v[152:153]
	global_load_dwordx2 v[2:3], v[2:3], off
	s_waitcnt vmcnt(0)
	v_cvt_pk_f16_f32 v2, v2, v3
	v_pk_mul_f16 v2, v2, v219
	v_add_u32_e32 v3, v89, v223
	ds_write_b32 v3, v2 offset:1600
.LBB0_171:                              ;   in Loop: Header=BB0_12 Depth=1
	s_or_b64 exec, exec, s[10:11]
	v_add_u32_e32 v2, v226, v109
	v_or_b32_e32 v3, v227, v107
	v_cmp_le_i32_e64 s[10:11], s36, v2
	v_cmp_le_i32_e64 s[14:15], s3, v3
	s_or_b64 s[10:11], s[10:11], s[14:15]
	s_and_saveexec_b64 s[14:15], s[10:11]
	s_xor_b64 s[10:11], exec, s[14:15]
; %bb.172:                              ;   in Loop: Header=BB0_12 Depth=1
	v_add_u32_e32 v2, v89, v223
	ds_write_b32 v2, v37 offset:3200
                                        ; implicit-def: $vgpr2
; %bb.173:                              ;   in Loop: Header=BB0_12 Depth=1
	s_andn2_saveexec_b64 s[10:11], s[10:11]
	s_cbranch_execz .LBB0_175
; %bb.174:                              ;   in Loop: Header=BB0_12 Depth=1
	v_mad_u64_u32 v[2:3], s[14:15], v2, s57, v[110:111]
	v_ashrrev_i32_e32 v3, 31, v2
	v_lshl_add_u64 v[2:3], v[2:3], 3, v[152:153]
	global_load_dwordx2 v[2:3], v[2:3], off
	s_waitcnt vmcnt(0)
	v_cvt_pk_f16_f32 v2, v2, v3
	v_pk_mul_f16 v2, v2, v219
	v_add_u32_e32 v3, v89, v223
	ds_write_b32 v3, v2 offset:3200
.LBB0_175:                              ;   in Loop: Header=BB0_12 Depth=1
	;; [unrolled: 26-line block ×3, first 2 shown]
	s_or_b64 exec, exec, s[10:11]
	v_add_u32_e32 v2, v230, v109
	v_cmp_le_i32_e64 s[10:11], s36, v2
	s_xor_b64 s[14:15], vcc, -1
	s_or_b64 s[10:11], s[10:11], s[14:15]
	s_and_saveexec_b64 s[14:15], s[10:11]
	s_xor_b64 s[10:11], exec, s[14:15]
; %bb.180:                              ;   in Loop: Header=BB0_12 Depth=1
	v_add_u32_e32 v2, v89, v223
	ds_write_b32 v2, v37 offset:6400
                                        ; implicit-def: $vgpr2
; %bb.181:                              ;   in Loop: Header=BB0_12 Depth=1
	s_andn2_saveexec_b64 s[10:11], s[10:11]
	s_cbranch_execz .LBB0_183
; %bb.182:                              ;   in Loop: Header=BB0_12 Depth=1
	v_mad_u64_u32 v[2:3], s[14:15], v2, s57, v[106:107]
	v_ashrrev_i32_e32 v3, 31, v2
	v_lshl_add_u64 v[2:3], v[2:3], 3, v[152:153]
	global_load_dwordx2 v[2:3], v[2:3], off
	s_waitcnt vmcnt(0)
	v_cvt_pk_f16_f32 v2, v2, v3
	v_pk_mul_f16 v2, v2, v219
	v_add_u32_e32 v3, v89, v223
	ds_write_b32 v3, v2 offset:6400
.LBB0_183:                              ;   in Loop: Header=BB0_12 Depth=1
	s_or_b64 exec, exec, s[10:11]
	v_add_u32_e32 v2, v231, v109
	v_or_b32_e32 v3, v232, v107
	v_cmp_le_i32_e32 vcc, s36, v2
	v_cmp_le_i32_e64 s[10:11], s3, v3
	s_or_b64 s[10:11], vcc, s[10:11]
	s_and_saveexec_b64 s[14:15], s[10:11]
	s_xor_b64 s[10:11], exec, s[14:15]
; %bb.184:                              ;   in Loop: Header=BB0_12 Depth=1
	v_add_u32_e32 v2, v89, v223
	ds_write_b32 v2, v37 offset:8000
                                        ; implicit-def: $vgpr2
; %bb.185:                              ;   in Loop: Header=BB0_12 Depth=1
	s_andn2_saveexec_b64 s[10:11], s[10:11]
	s_cbranch_execz .LBB0_187
; %bb.186:                              ;   in Loop: Header=BB0_12 Depth=1
	v_mad_u64_u32 v[2:3], s[14:15], v2, s57, v[114:115]
	v_ashrrev_i32_e32 v3, 31, v2
	v_lshl_add_u64 v[2:3], v[2:3], 3, v[152:153]
	global_load_dwordx2 v[2:3], v[2:3], off
	s_waitcnt vmcnt(0)
	v_cvt_pk_f16_f32 v2, v2, v3
	v_pk_mul_f16 v2, v2, v219
	v_add_u32_e32 v3, v89, v223
	ds_write_b32 v3, v2 offset:8000
.LBB0_187:                              ;   in Loop: Header=BB0_12 Depth=1
	s_or_b64 exec, exec, s[10:11]
	v_add_u32_e32 v2, v233, v109
	v_or_b32_e32 v3, v234, v107
	v_cmp_le_i32_e32 vcc, s36, v2
	v_cmp_le_i32_e64 s[10:11], s3, v3
	s_or_b64 s[10:11], vcc, s[10:11]
	;; [unrolled: 26-line block ×3, first 2 shown]
	s_and_saveexec_b64 s[14:15], s[10:11]
	s_xor_b64 s[10:11], exec, s[14:15]
; %bb.192:                              ;   in Loop: Header=BB0_12 Depth=1
	v_add_u32_e32 v2, v89, v223
	ds_write_b32 v2, v37 offset:11200
                                        ; implicit-def: $vgpr2
; %bb.193:                              ;   in Loop: Header=BB0_12 Depth=1
	s_andn2_saveexec_b64 s[10:11], s[10:11]
	s_cbranch_execz .LBB0_195
; %bb.194:                              ;   in Loop: Header=BB0_12 Depth=1
	v_mad_u64_u32 v[2:3], s[14:15], v2, s57, v[118:119]
	v_ashrrev_i32_e32 v3, 31, v2
	v_lshl_add_u64 v[2:3], v[2:3], 3, v[152:153]
	global_load_dwordx2 v[2:3], v[2:3], off
	s_waitcnt vmcnt(0)
	v_cvt_pk_f16_f32 v2, v2, v3
	v_pk_mul_f16 v2, v2, v219
	v_add_u32_e32 v3, v89, v223
	ds_write_b32 v3, v2 offset:11200
.LBB0_195:                              ;   in Loop: Header=BB0_12 Depth=1
	s_or_b64 exec, exec, s[10:11]
	v_add_u32_e32 v2, v185, v109
	v_or_b32_e32 v3, v186, v107
	v_cmp_le_i32_e64 s[10:11], s36, v2
	v_cmp_le_i32_e64 s[14:15], s3, v3
	v_cmp_gt_i32_e32 vcc, s3, v3
	s_or_b64 s[10:11], s[10:11], s[14:15]
	s_and_saveexec_b64 s[14:15], s[10:11]
	s_xor_b64 s[10:11], exec, s[14:15]
; %bb.196:                              ;   in Loop: Header=BB0_12 Depth=1
	ds_write_b32 v188, v37 offset:256
                                        ; implicit-def: $vgpr2
; %bb.197:                              ;   in Loop: Header=BB0_12 Depth=1
	s_andn2_saveexec_b64 s[10:11], s[10:11]
	s_cbranch_execz .LBB0_199
; %bb.198:                              ;   in Loop: Header=BB0_12 Depth=1
	v_mad_u64_u32 v[2:3], s[14:15], v2, s57, v[64:65]
	v_ashrrev_i32_e32 v3, 31, v2
	v_lshl_add_u64 v[2:3], v[2:3], 3, v[152:153]
	global_load_dwordx2 v[2:3], v[2:3], off
	s_waitcnt vmcnt(0)
	v_cvt_pk_f16_f32 v2, v2, v3
	v_pk_mul_f16 v2, v2, v219
	v_add_u32_e32 v3, v184, v187
	ds_write_b32 v3, v2 offset:256
.LBB0_199:                              ;   in Loop: Header=BB0_12 Depth=1
	s_or_b64 exec, exec, s[10:11]
	v_add_u32_e32 v2, v181, v109
	v_or_b32_e32 v3, v182, v107
	v_cmp_le_i32_e64 s[10:11], s36, v2
	v_cmp_le_i32_e64 s[14:15], s3, v3
	s_or_b64 s[10:11], s[10:11], s[14:15]
	s_and_saveexec_b64 s[14:15], s[10:11]
	s_xor_b64 s[10:11], exec, s[14:15]
; %bb.200:                              ;   in Loop: Header=BB0_12 Depth=1
	ds_write_b32 v237, v37 offset:256
                                        ; implicit-def: $vgpr2
; %bb.201:                              ;   in Loop: Header=BB0_12 Depth=1
	s_andn2_saveexec_b64 s[10:11], s[10:11]
	s_cbranch_execz .LBB0_203
; %bb.202:                              ;   in Loop: Header=BB0_12 Depth=1
	v_mad_u64_u32 v[2:3], s[14:15], v2, s57, v[66:67]
	v_ashrrev_i32_e32 v3, 31, v2
	v_lshl_add_u64 v[2:3], v[2:3], 3, v[152:153]
	global_load_dwordx2 v[2:3], v[2:3], off
	s_waitcnt vmcnt(0)
	v_cvt_pk_f16_f32 v2, v2, v3
	v_pk_mul_f16 v2, v2, v219
	v_add_u32_e32 v3, v184, v187
	ds_write_b32 v3, v2 offset:3456
.LBB0_203:                              ;   in Loop: Header=BB0_12 Depth=1
	s_or_b64 exec, exec, s[10:11]
	v_add_u32_e32 v2, v183, v109
	v_cmp_le_i32_e64 s[10:11], s36, v2
	s_xor_b64 s[14:15], vcc, -1
	s_or_b64 s[10:11], s[10:11], s[14:15]
	s_and_saveexec_b64 s[14:15], s[10:11]
	s_xor_b64 s[10:11], exec, s[14:15]
; %bb.204:                              ;   in Loop: Header=BB0_12 Depth=1
	ds_write_b32 v238, v37 offset:256
                                        ; implicit-def: $vgpr2
; %bb.205:                              ;   in Loop: Header=BB0_12 Depth=1
	s_andn2_saveexec_b64 s[10:11], s[10:11]
	s_cbranch_execz .LBB0_207
; %bb.206:                              ;   in Loop: Header=BB0_12 Depth=1
	v_mad_u64_u32 v[2:3], s[14:15], v2, s57, v[64:65]
	v_ashrrev_i32_e32 v3, 31, v2
	v_lshl_add_u64 v[2:3], v[2:3], 3, v[152:153]
	global_load_dwordx2 v[2:3], v[2:3], off
	s_waitcnt vmcnt(0)
	v_cvt_pk_f16_f32 v2, v2, v3
	v_pk_mul_f16 v2, v2, v219
	v_add_u32_e32 v3, v184, v187
	ds_write_b32 v3, v2 offset:6656
.LBB0_207:                              ;   in Loop: Header=BB0_12 Depth=1
	s_or_b64 exec, exec, s[10:11]
	v_add_u32_e32 v2, v189, v109
	v_or_b32_e32 v3, v190, v107
	v_cmp_le_i32_e32 vcc, s36, v2
	v_cmp_le_i32_e64 s[10:11], s3, v3
	s_or_b64 s[10:11], vcc, s[10:11]
	s_and_saveexec_b64 s[14:15], s[10:11]
	s_xor_b64 s[10:11], exec, s[14:15]
; %bb.208:                              ;   in Loop: Header=BB0_12 Depth=1
	ds_write_b32 v239, v37 offset:256
                                        ; implicit-def: $vgpr2
                                        ; implicit-def: $vgpr152_vgpr153
; %bb.209:                              ;   in Loop: Header=BB0_12 Depth=1
	s_andn2_saveexec_b64 s[10:11], s[10:11]
	s_cbranch_execz .LBB0_211
; %bb.210:                              ;   in Loop: Header=BB0_12 Depth=1
	v_mad_u64_u32 v[2:3], s[14:15], v2, s57, v[68:69]
	v_ashrrev_i32_e32 v3, 31, v2
	v_lshl_add_u64 v[2:3], v[2:3], 3, v[152:153]
	global_load_dwordx2 v[2:3], v[2:3], off
	s_waitcnt vmcnt(0)
	v_cvt_pk_f16_f32 v2, v2, v3
	v_pk_mul_f16 v2, v2, v219
	v_add_u32_e32 v3, v184, v187
	ds_write_b32 v3, v2 offset:9856
.LBB0_211:                              ;   in Loop: Header=BB0_12 Depth=1
	s_or_b64 exec, exec, s[10:11]
	s_waitcnt lgkmcnt(0)
	s_barrier
	ds_read2_b64 v[14:17], v93 offset1:4
	ds_read2_b64 v[10:13], v93 offset0:8 offset1:12
	ds_read2_b64 v[6:9], v93 offset0:16 offset1:20
	;; [unrolled: 1-line block ×5, first 2 shown]
	s_cmp_lt_i32 s98, 2
	s_waitcnt lgkmcnt(0)
	s_barrier
	s_cbranch_scc1 .LBB0_216
; %bb.212:                              ;   in Loop: Header=BB0_12 Depth=1
	v_add_u32_e32 v26, v111, v71
	v_lshl_add_u32 v26, v26, 1, v91
	v_mul_hi_u32 v27, s44, v26
	v_add_u32_e32 v27, v26, v27
	v_lshrrev_b32_e32 v27, s45, v27
	v_mul_lo_u32 v27, v27, s36
	v_sub_u32_e32 v26, v26, v27
	v_and_b32_e32 v27, 64, v241
	v_add_u32_e32 v27, 64, v27
	v_xor_b32_e32 v28, 32, v241
	v_cmp_lt_i32_e32 vcc, v28, v27
	s_add_i32 s14, s98, -1
	v_mov_b32_e32 v119, 0
	v_cndmask_b32_e32 v28, v241, v28, vcc
	v_lshlrev_b32_e32 v36, 2, v28
	v_xor_b32_e32 v28, 16, v241
	v_cmp_lt_i32_e32 vcc, v28, v27
	v_mov_b32_e32 v96, 0xfeffffff
	v_mov_b32_e32 v94, 0
	v_cndmask_b32_e32 v27, v241, v28, vcc
	v_lshlrev_b32_e32 v117, 2, v27
	v_mad_i64_i32 v[26:27], s[10:11], s68, v26, v[150:151]
	v_lshl_add_u64 v[150:151], v[100:101], 0, v[26:27]
	v_lshl_add_u64 v[26:27], v[154:155], 0, v[156:157]
	;; [unrolled: 1-line block ×12, first 2 shown]
	s_mov_b32 s15, s14
	v_mov_b32_e32 v202, 0
	v_mov_b32_e32 v244, 0
	;; [unrolled: 1-line block ×15, first 2 shown]
	s_and_saveexec_b64 s[10:11], s[0:1]
	s_cbranch_execz .LBB0_214
.LBB0_213:                              ;   in Loop: Header=BB0_12 Depth=1
	global_load_dword v77, v[150:151], off
	s_waitcnt vmcnt(0)
	ds_write_b32 v95, v77 offset:17408
.LBB0_214:                              ;   Parent Loop BB0_12 Depth=1
                                        ; =>  This Inner Loop Header: Depth=2
	s_or_b64 exec, exec, s[10:11]
	v_lshlrev_b64 v[210:211], 2, v[52:53]
	v_lshl_add_u64 v[210:211], v[146:147], 0, v[210:211]
	global_load_dwordx4 v[214:217], v[210:211], off
	v_lshlrev_b64 v[210:211], 2, v[38:39]
	v_lshl_add_u64 v[210:211], v[146:147], 0, v[210:211]
	v_add_u32_e32 v77, 0x2000, v166
	v_lshl_add_u64 v[254:255], v[154:155], 0, v[54:55]
	s_add_i32 s15, s15, -1
	v_lshl_add_u64 v[150:151], v[150:151], 0, s[74:75]
	v_lshl_add_u64 v[154:155], v[154:155], 0, s[70:71]
	;; [unrolled: 1-line block ×3, first 2 shown]
	s_cmp_lg_u32 s15, 0
	s_waitcnt vmcnt(0)
	ds_write_b128 v97, v[214:217]
	global_load_dwordx4 v[214:217], v[210:211], off
	v_lshl_add_u64 v[210:211], v[148:149], 0, v[54:55]
	v_lshl_add_u64 v[148:149], v[148:149], 0, s[72:73]
	s_waitcnt vmcnt(0)
	ds_write_b128 v99, v[214:217]
	s_waitcnt lgkmcnt(0)
	s_barrier
	ds_read2_b64 v[214:217], v166 offset1:4
	s_waitcnt lgkmcnt(0)
	v_mfma_f32_16x16x16_f16 a[0:3], v[214:215], v[22:23], 0
	v_mfma_f32_16x16x16_f16 a[0:3], v[216:217], v[24:25], a[0:3]
	ds_read2_b64 v[214:217], v166 offset0:8 offset1:12
	s_waitcnt lgkmcnt(0)
	v_mfma_f32_16x16x16_f16 a[0:3], v[214:215], v[18:19], a[0:3]
	v_mfma_f32_16x16x16_f16 a[0:3], v[216:217], v[20:21], a[0:3]
	ds_read2_b64 v[214:217], v77 offset0:64 offset1:68
	s_waitcnt lgkmcnt(0)
	v_mfma_f32_16x16x16_f16 a[4:7], v[214:215], v[22:23], 0
	v_mfma_f32_16x16x16_f16 a[4:7], v[216:217], v[24:25], a[4:7]
	ds_read2_b64 v[214:217], v77 offset0:72 offset1:76
	s_waitcnt lgkmcnt(0)
	s_barrier
	v_mfma_f32_16x16x16_f16 a[4:7], v[214:215], v[18:19], a[4:7]
	v_mfma_f32_16x16x16_f16 a[4:7], v[216:217], v[20:21], a[4:7]
	global_load_dwordx4 v[214:217], v[210:211], off
	v_lshl_add_u64 v[210:211], v[160:161], 0, v[54:55]
	v_lshl_add_u64 v[160:161], v[160:161], 0, s[72:73]
	s_waitcnt vmcnt(0)
	ds_write_b128 v175, v[214:217]
	global_load_dwordx4 v[214:217], v[210:211], off
	v_lshl_add_u64 v[210:211], v[162:163], 0, v[54:55]
	v_lshl_add_u64 v[162:163], v[162:163], 0, s[72:73]
	s_waitcnt vmcnt(0)
	ds_write_b128 v220, v[214:217]
	;; [unrolled: 5-line block ×3, first 2 shown]
	global_load_dwordx4 v[214:217], v[210:211], off
	s_waitcnt vmcnt(0)
	ds_write_b128 v222, v[214:217]
	s_waitcnt lgkmcnt(0)
	s_barrier
	ds_read2_b64 v[214:217], v166 offset1:4
	s_waitcnt lgkmcnt(0)
	v_mfma_f32_16x16x16_f16 a[0:3], v[214:215], v[14:15], a[0:3]
	v_mfma_f32_16x16x16_f16 a[0:3], v[216:217], v[16:17], a[0:3]
	ds_read2_b64 v[214:217], v166 offset0:8 offset1:12
	s_waitcnt lgkmcnt(0)
	v_mfma_f32_16x16x16_f16 a[0:3], v[214:215], v[10:11], a[0:3]
	v_mfma_f32_16x16x16_f16 a[0:3], v[216:217], v[12:13], a[0:3]
	ds_read2_b64 v[214:217], v166 offset0:16 offset1:20
	;; [unrolled: 4-line block ×4, first 2 shown]
	s_waitcnt lgkmcnt(0)
	v_mfma_f32_16x16x16_f16 a[4:7], v[214:215], v[14:15], a[4:7]
	s_nop 4
	v_accvgpr_read_b32 v98, a0
	v_accvgpr_read_b32 v115, a2
	v_mfma_f32_16x16x16_f16 a[4:7], v[216:217], v[16:17], a[4:7]
	ds_read2_b64 v[214:217], v77 offset0:72 offset1:76
	s_waitcnt lgkmcnt(0)
	v_mfma_f32_16x16x16_f16 a[4:7], v[214:215], v[10:11], a[4:7]
	v_mfma_f32_16x16x16_f16 a[4:7], v[216:217], v[12:13], a[4:7]
	ds_read2_b64 v[214:217], v77 offset0:80 offset1:84
	s_waitcnt lgkmcnt(0)
	v_mfma_f32_16x16x16_f16 a[4:7], v[214:215], v[6:7], a[4:7]
	v_mfma_f32_16x16x16_f16 a[4:7], v[216:217], v[8:9], a[4:7]
	ds_read2_b64 v[214:217], v77 offset0:88 offset1:92
	v_add_u32_e32 v77, 0x4400, v167
	s_waitcnt lgkmcnt(0)
	s_barrier
	ds_read2_b32 v[210:211], v77 offset1:1
	v_mfma_f32_16x16x16_f16 a[4:7], v[214:215], v[2:3], a[4:7]
	s_waitcnt lgkmcnt(0)
	v_cvt_f32_f16_e32 v77, v210
	v_cvt_f32_f16_sdwa v92, v210 dst_sel:DWORD dst_unused:UNUSED_PAD src0_sel:WORD_1
	v_cvt_f32_f16_sdwa v113, v211 dst_sel:DWORD dst_unused:UNUSED_PAD src0_sel:WORD_1
	v_mfma_f32_16x16x16_f16 a[4:7], v[216:217], v[4:5], a[4:7]
	v_add_f32_e32 v77, v98, v77
	v_accvgpr_read_b32 v98, a1
	v_add_f32_e32 v92, v98, v92
	v_cvt_f32_f16_e32 v98, v211
	v_add_f32_e32 v210, 0x40051340, v92
	v_add_f32_e32 v98, v115, v98
	v_accvgpr_read_b32 v115, a3
	v_add_f32_e32 v115, v115, v113
	ds_read_b32 v113, v176 offset:17408
	v_accvgpr_read_b32 v201, a4
	v_accvgpr_read_b32 v209, a6
	v_add_f32_e32 v211, 0x40051340, v115
	s_waitcnt lgkmcnt(0)
	v_cvt_f32_f16_e32 v199, v113
	v_cvt_f32_f16_sdwa v113, v113 dst_sel:DWORD dst_unused:UNUSED_PAD src0_sel:WORD_1
	v_add_f32_e32 v199, v201, v199
	v_accvgpr_read_b32 v201, a5
	v_add_f32_e32 v201, v201, v113
	ds_read_b32 v113, v177 offset:17408
	s_waitcnt lgkmcnt(0)
	v_cvt_f32_f16_e32 v203, v113
	v_cvt_f32_f16_sdwa v113, v113 dst_sel:DWORD dst_unused:UNUSED_PAD src0_sel:WORD_1
	v_add_f32_e32 v203, v209, v203
	v_accvgpr_read_b32 v209, a7
	v_add_f32_e32 v209, v209, v113
	v_add_f32_e32 v113, 0x40051340, v77
	v_max3_f32 v113, v96, v113, v210
	v_add_f32_e32 v210, 0x40051340, v98
	v_max3_f32 v113, v113, v210, v211
	v_add_f32_e32 v210, 0x40051340, v199
	v_add_f32_e32 v211, 0x40051340, v201
	v_max3_f32 v113, v113, v210, v211
	v_add_f32_e32 v210, 0x40051340, v203
	v_add_f32_e32 v211, 0x40051340, v209
	v_max3_f32 v113, v113, v210, v211
	ds_bpermute_b32 v210, v36, v113
	s_waitcnt lgkmcnt(0)
	v_max_f32_e32 v210, v210, v210
	v_max_f32_e32 v113, v113, v210
	ds_bpermute_b32 v210, v117, v113
	s_waitcnt lgkmcnt(0)
	v_max_f32_e32 v210, v210, v210
	v_max_f32_e32 v113, v113, v210
	v_sub_f32_e32 v77, v77, v113
	v_mul_f32_e32 v210, 0x3fb8aa3b, v77
	v_fma_f32 v211, v77, s47, -v210
	v_rndne_f32_e32 v213, v210
	v_fmac_f32_e32 v211, 0x32a5705f, v77
	v_sub_f32_e32 v210, v210, v213
	v_add_f32_e32 v210, v210, v211
	v_exp_f32_e32 v210, v210
	v_cvt_i32_f32_e32 v211, v213
	v_cmp_ngt_f32_e32 vcc, s69, v77
	v_sub_f32_e32 v92, v92, v113
	v_sub_f32_e32 v98, v98, v113
	v_ldexp_f32 v210, v210, v211
	v_cndmask_b32_e32 v210, 0, v210, vcc
	v_cmp_nlt_f32_e32 vcc, s94, v77
	s_nop 1
	v_cndmask_b32_e32 v77, v242, v210, vcc
	v_mul_f32_e32 v210, 0x3fb8aa3b, v92
	v_fma_f32 v211, v92, s47, -v210
	v_rndne_f32_e32 v213, v210
	v_fmac_f32_e32 v211, 0x32a5705f, v92
	v_sub_f32_e32 v210, v210, v213
	v_add_f32_e32 v210, v210, v211
	v_exp_f32_e32 v210, v210
	v_cvt_i32_f32_e32 v211, v213
	v_cmp_ngt_f32_e32 vcc, s69, v92
	v_ldexp_f32 v210, v210, v211
	v_mul_f32_e32 v211, 0x3fb8aa3b, v98
	v_fma_f32 v213, v98, s47, -v211
	v_rndne_f32_e32 v214, v211
	v_fmac_f32_e32 v213, 0x32a5705f, v98
	v_sub_f32_e32 v211, v211, v214
	v_add_f32_e32 v211, v211, v213
	v_exp_f32_e32 v211, v211
	v_cvt_i32_f32_e32 v213, v214
	v_cndmask_b32_e32 v210, 0, v210, vcc
	v_cmp_nlt_f32_e32 vcc, s94, v92
	v_ldexp_f32 v211, v211, v213
	s_nop 0
	v_cndmask_b32_e32 v210, v242, v210, vcc
	v_cmp_ngt_f32_e32 vcc, s69, v98
	v_add_f32_e32 v92, v77, v210
	s_nop 0
	v_cndmask_b32_e32 v211, 0, v211, vcc
	v_cmp_nlt_f32_e32 vcc, s94, v98
	v_sub_f32_e32 v98, v115, v113
	v_mul_f32_e32 v115, 0x3fb8aa3b, v98
	v_cndmask_b32_e32 v217, v242, v211, vcc
	v_fma_f32 v211, v98, s47, -v115
	v_rndne_f32_e32 v213, v115
	v_fmac_f32_e32 v211, 0x32a5705f, v98
	v_sub_f32_e32 v115, v115, v213
	v_add_f32_e32 v115, v115, v211
	v_exp_f32_e32 v115, v115
	v_cvt_i32_f32_e32 v211, v213
	v_cmp_ngt_f32_e32 vcc, s69, v98
	v_add_f32_e32 v92, v217, v92
	v_ldexp_f32 v115, v115, v211
	v_cndmask_b32_e32 v115, 0, v115, vcc
	v_cmp_nlt_f32_e32 vcc, s94, v98
	v_sub_f32_e32 v98, v199, v113
	s_nop 0
	v_cndmask_b32_e32 v247, v242, v115, vcc
	v_mul_f32_e32 v115, 0x3fb8aa3b, v98
	v_fma_f32 v199, v98, s47, -v115
	v_rndne_f32_e32 v211, v115
	v_fmac_f32_e32 v199, 0x32a5705f, v98
	v_sub_f32_e32 v115, v115, v211
	v_add_f32_e32 v115, v115, v199
	v_exp_f32_e32 v115, v115
	v_cvt_i32_f32_e32 v199, v211
	v_cmp_ngt_f32_e32 vcc, s69, v98
	v_add_f32_e32 v92, v247, v92
	v_ldexp_f32 v115, v115, v199
	v_cndmask_b32_e32 v115, 0, v115, vcc
	v_cmp_nlt_f32_e32 vcc, s94, v98
	v_sub_f32_e32 v98, v201, v113
	s_nop 0
	v_cndmask_b32_e32 v246, v242, v115, vcc
	v_mul_f32_e32 v115, 0x3fb8aa3b, v98
	;; [unrolled: 16-line block ×4, first 2 shown]
	v_fma_f32 v199, v98, s47, -v115
	v_rndne_f32_e32 v201, v115
	v_fmac_f32_e32 v199, 0x32a5705f, v98
	v_sub_f32_e32 v115, v115, v201
	v_add_f32_e32 v115, v115, v199
	v_exp_f32_e32 v115, v115
	v_cvt_i32_f32_e32 v199, v201
	v_cmp_ngt_f32_e32 vcc, s69, v98
	v_add_f32_e32 v92, v249, v92
	v_ldexp_f32 v115, v115, v199
	v_cndmask_b32_e32 v115, 0, v115, vcc
	v_cmp_nlt_f32_e32 vcc, s94, v98
	s_nop 1
	v_cndmask_b32_e32 v252, v242, v115, vcc
	v_add_f32_e32 v115, v252, v92
	v_sub_f32_e32 v92, v96, v113
	v_mul_f32_e32 v96, 0x3fb8aa3b, v92
	v_fma_f32 v98, v92, s47, -v96
	v_rndne_f32_e32 v199, v96
	v_fmac_f32_e32 v98, 0x32a5705f, v92
	v_sub_f32_e32 v96, v96, v199
	v_add_f32_e32 v96, v96, v98
	v_exp_f32_e32 v96, v96
	v_cvt_i32_f32_e32 v98, v199
	v_cmp_ngt_f32_e32 vcc, s69, v92
	v_ldexp_f32 v96, v96, v98
	s_nop 0
	v_cndmask_b32_e32 v96, 0, v96, vcc
	v_cmp_nlt_f32_e32 vcc, s94, v92
	s_nop 1
	v_cndmask_b32_e32 v96, v242, v96, vcc
	v_cmp_le_f32_e32 vcc, s95, v92
	s_nop 1
	v_cndmask_b32_e32 v92, 0, v96, vcc
	v_fmac_f32_e32 v115, v94, v92
	v_cvt_f16_f32_e32 v92, v92
	v_mul_u32_u24_e32 v92, 0x10001, v92
	v_pk_mul_f16 v218, v27, v92
	v_pk_mul_f16 v216, v26, v92
	v_lshl_add_u64 v[26:27], v[152:153], 0, v[54:55]
	v_pk_mul_f16 v98, v198, v92
	v_pk_mul_f16 v198, v204, v92
	;; [unrolled: 1-line block ×4, first 2 shown]
	global_load_dwordx4 v[26:29], v[26:27], off
	v_pk_mul_f16 v215, v200, v92
	v_pk_mul_f16 v200, v206, v92
	;; [unrolled: 1-line block ×3, first 2 shown]
	v_lshl_add_u64 v[208:209], v[156:157], 0, v[54:55]
	v_pk_mul_f16 v251, v250, v92
	v_pk_mul_f16 v250, v245, v92
	;; [unrolled: 1-line block ×6, first 2 shown]
	v_lshl_add_u64 v[202:203], v[158:159], 0, v[54:55]
	v_pk_mul_f16 v212, v212, v92
	v_cvt_f32_f16_e32 v92, v215
	v_cvt_f32_f16_sdwa v94, v215 dst_sel:DWORD dst_unused:UNUSED_PAD src0_sel:WORD_1
	v_cvt_f32_f16_e32 v96, v98
	v_cvt_f32_f16_sdwa v98, v98 dst_sel:DWORD dst_unused:UNUSED_PAD src0_sel:WORD_1
	v_accvgpr_write_b32 a0, v92
	v_accvgpr_write_b32 a1, v94
	;; [unrolled: 1-line block ×4, first 2 shown]
	v_cvt_f32_f16_sdwa v213, v244 dst_sel:DWORD dst_unused:UNUSED_PAD src0_sel:WORD_1
	v_lshl_add_u64 v[152:153], v[152:153], 0, s[70:71]
	v_lshl_add_u64 v[156:157], v[156:157], 0, s[70:71]
	;; [unrolled: 1-line block ×3, first 2 shown]
	s_waitcnt vmcnt(0)
	ds_write_b128 v175, v[26:29]
	global_load_dwordx4 v[26:29], v[254:255], off
	s_waitcnt vmcnt(0)
	ds_write_b128 v220, v[26:29]
	global_load_dwordx4 v[26:29], v[208:209], off
	;; [unrolled: 3-line block ×3, first 2 shown]
	s_waitcnt vmcnt(0)
	ds_write_b128 v222, v[26:29]
	s_waitcnt lgkmcnt(0)
	s_barrier
	ds_read_u16 v26, v170
	ds_read_u16 v199, v170 offset:32
	ds_read_u16 v27, v171 offset:272
	;; [unrolled: 1-line block ×3, first 2 shown]
	v_cvt_pk_f16_f32 v29, v217, v247
	s_waitcnt lgkmcnt(1)
	v_perm_b32 v27, v27, v26, s96
	ds_read_u16 v26, v168
	ds_read_u16 v208, v168 offset:32
	ds_read_u16 v28, v169 offset:272
	;; [unrolled: 1-line block ×7, first 2 shown]
	s_waitcnt lgkmcnt(5)
	v_perm_b32 v26, v28, v26, s96
	v_cvt_pk_f16_f32 v28, v77, v210
	s_waitcnt lgkmcnt(0)
	v_perm_b32 v203, v202, v98, s96
	v_perm_b32 v202, v96, v94, s96
	v_mfma_f32_16x16x16_f16 a[0:3], v[26:27], v[28:29], a[0:3]
	v_cvt_f32_f16_e32 v94, v198
	v_cvt_f32_f16_sdwa v96, v198 dst_sel:DWORD dst_unused:UNUSED_PAD src0_sel:WORD_1
	s_nop 5
	v_accvgpr_read_b32 v26, a0
	v_accvgpr_read_b32 v27, a1
	;; [unrolled: 1-line block ×4, first 2 shown]
	v_cvt_f16_f32_e32 v26, v26
	v_cvt_f16_f32_e32 v27, v27
	;; [unrolled: 1-line block ×4, first 2 shown]
	v_cvt_f32_f16_e32 v210, v26
	v_cvt_f32_f16_e32 v211, v27
	;; [unrolled: 1-line block ×4, first 2 shown]
	v_cvt_pk_f16_f32 v27, v249, v252
	v_cvt_pk_f16_f32 v26, v246, v248
	v_accvgpr_write_b32 a0, v210
	v_accvgpr_write_b32 a1, v211
	;; [unrolled: 1-line block ×4, first 2 shown]
	v_cvt_f32_f16_e32 v77, v200
	v_cvt_f32_f16_sdwa v92, v200 dst_sel:DWORD dst_unused:UNUSED_PAD src0_sel:WORD_1
	v_mfma_f32_16x16x16_f16 a[0:3], v[202:203], v[26:27], a[0:3]
	v_perm_b32 v203, v201, v199, s96
	v_perm_b32 v202, v209, v208, s96
	ds_read_u16 v98, v168 offset:8736
	ds_read_u16 v198, v169 offset:9008
	;; [unrolled: 1-line block ×4, first 2 shown]
	v_cvt_f32_f16_e32 v201, v216
	v_cvt_f32_f16_sdwa v209, v216 dst_sel:DWORD dst_unused:UNUSED_PAD src0_sel:WORD_1
	v_accvgpr_read_b32 v246, a0
	v_accvgpr_read_b32 v247, a1
	;; [unrolled: 1-line block ×4, first 2 shown]
	v_accvgpr_write_b32 a0, v77
	v_accvgpr_write_b32 a1, v92
	;; [unrolled: 1-line block ×4, first 2 shown]
	v_cvt_f32_f16_sdwa v211, v250 dst_sel:DWORD dst_unused:UNUSED_PAD src0_sel:WORD_1
	s_nop 0
	v_mfma_f32_16x16x16_f16 a[0:3], v[202:203], v[28:29], a[0:3]
	s_waitcnt lgkmcnt(0)
	v_perm_b32 v203, v200, v199, s96
	v_perm_b32 v202, v198, v98, s96
	v_cvt_f32_f16_e32 v98, v206
	v_cvt_f32_f16_sdwa v198, v206 dst_sel:DWORD dst_unused:UNUSED_PAD src0_sel:WORD_1
	v_cvt_f32_f16_e32 v199, v204
	v_cvt_f32_f16_sdwa v200, v204 dst_sel:DWORD dst_unused:UNUSED_PAD src0_sel:WORD_1
	s_nop 0
	v_accvgpr_read_b32 v77, a0
	v_accvgpr_read_b32 v92, a1
	;; [unrolled: 1-line block ×4, first 2 shown]
	v_cvt_f16_f32_e32 v77, v77
	v_cvt_f16_f32_e32 v92, v92
	;; [unrolled: 1-line block ×4, first 2 shown]
	v_cvt_f32_f16_e32 v77, v77
	v_cvt_f32_f16_e32 v92, v92
	;; [unrolled: 1-line block ×4, first 2 shown]
	v_accvgpr_write_b32 a0, v77
	v_accvgpr_write_b32 a1, v92
	;; [unrolled: 1-line block ×4, first 2 shown]
	ds_read_u16 v77, v168 offset:64
	ds_read_u16 v92, v169 offset:336
	;; [unrolled: 1-line block ×4, first 2 shown]
	v_mfma_f32_16x16x16_f16 a[0:3], v[202:203], v[26:27], a[0:3]
	s_waitcnt lgkmcnt(2)
	v_perm_b32 v202, v92, v77, s96
	s_waitcnt lgkmcnt(0)
	v_perm_b32 v203, v96, v94, s96
	s_nop 3
	v_accvgpr_read_b32 v252, a0
	v_accvgpr_read_b32 v253, a1
	;; [unrolled: 1-line block ×4, first 2 shown]
	v_accvgpr_write_b32 a0, v98
	v_accvgpr_write_b32 a1, v198
	;; [unrolled: 1-line block ×4, first 2 shown]
	ds_read_u16 v98, v168 offset:8768
	ds_read_u16 v198, v169 offset:9040
	;; [unrolled: 1-line block ×4, first 2 shown]
	v_mfma_f32_16x16x16_f16 a[0:3], v[202:203], v[28:29], a[0:3]
	s_waitcnt lgkmcnt(2)
	v_perm_b32 v202, v198, v98, s96
	v_cvt_f32_f16_e32 v98, v212
	s_waitcnt lgkmcnt(0)
	v_perm_b32 v203, v200, v199, s96
	v_cvt_f32_f16_sdwa v198, v212 dst_sel:DWORD dst_unused:UNUSED_PAD src0_sel:WORD_1
	v_cvt_f32_f16_e32 v199, v214
	v_cvt_f32_f16_sdwa v200, v214 dst_sel:DWORD dst_unused:UNUSED_PAD src0_sel:WORD_1
	v_accvgpr_read_b32 v77, a0
	v_accvgpr_read_b32 v92, a1
	;; [unrolled: 1-line block ×4, first 2 shown]
	v_cvt_f16_f32_e32 v77, v77
	v_cvt_f16_f32_e32 v92, v92
	;; [unrolled: 1-line block ×4, first 2 shown]
	v_cvt_f32_f16_e32 v77, v77
	v_cvt_f32_f16_e32 v92, v92
	;; [unrolled: 1-line block ×4, first 2 shown]
	v_accvgpr_write_b32 a0, v77
	v_accvgpr_write_b32 a1, v92
	;; [unrolled: 1-line block ×4, first 2 shown]
	ds_read_u16 v77, v168 offset:96
	ds_read_u16 v92, v169 offset:368
	;; [unrolled: 1-line block ×4, first 2 shown]
	v_mfma_f32_16x16x16_f16 a[0:3], v[202:203], v[26:27], a[0:3]
	s_waitcnt lgkmcnt(2)
	v_perm_b32 v202, v92, v77, s96
	s_waitcnt lgkmcnt(0)
	v_perm_b32 v203, v96, v94, s96
	s_nop 3
	v_accvgpr_read_b32 v210, a0
	v_accvgpr_read_b32 v208, a1
	;; [unrolled: 1-line block ×4, first 2 shown]
	v_accvgpr_write_b32 a0, v98
	v_accvgpr_write_b32 a1, v198
	v_accvgpr_write_b32 a2, v199
	v_accvgpr_write_b32 a3, v200
	ds_read_u16 v98, v168 offset:8800
	ds_read_u16 v198, v169 offset:9072
	;; [unrolled: 1-line block ×4, first 2 shown]
	v_mfma_f32_16x16x16_f16 a[0:3], v[202:203], v[28:29], a[0:3]
	v_cvt_pk_f16_f32 v208, v210, v208
	s_waitcnt lgkmcnt(2)
	v_perm_b32 v202, v198, v98, s96
	v_cvt_f32_f16_e32 v98, v218
	s_waitcnt lgkmcnt(0)
	v_perm_b32 v203, v200, v199, s96
	v_cvt_f32_f16_sdwa v199, v218 dst_sel:DWORD dst_unused:UNUSED_PAD src0_sel:WORD_1
	s_nop 0
	v_accvgpr_read_b32 v77, a0
	v_accvgpr_read_b32 v92, a1
	;; [unrolled: 1-line block ×4, first 2 shown]
	v_cvt_f16_f32_e32 v77, v77
	v_cvt_f16_f32_e32 v92, v92
	;; [unrolled: 1-line block ×4, first 2 shown]
	v_cvt_f32_f16_e32 v77, v77
	v_cvt_f32_f16_e32 v92, v92
	;; [unrolled: 1-line block ×4, first 2 shown]
	v_accvgpr_write_b32 a0, v77
	v_accvgpr_write_b32 a1, v92
	;; [unrolled: 1-line block ×4, first 2 shown]
	ds_read_u16 v77, v168 offset:128
	ds_read_u16 v92, v169 offset:400
	;; [unrolled: 1-line block ×4, first 2 shown]
	v_mfma_f32_16x16x16_f16 a[0:3], v[202:203], v[26:27], a[0:3]
	s_waitcnt lgkmcnt(2)
	v_perm_b32 v202, v92, v77, s96
	s_waitcnt lgkmcnt(0)
	v_perm_b32 v203, v96, v94, s96
	s_nop 3
	v_accvgpr_read_b32 v212, a0
	v_accvgpr_read_b32 v214, a1
	;; [unrolled: 1-line block ×4, first 2 shown]
	v_accvgpr_write_b32 a0, v98
	v_accvgpr_write_b32 a1, v199
	;; [unrolled: 1-line block ×4, first 2 shown]
	v_cvt_f32_f16_e32 v209, v250
	v_cvt_pk_f16_f32 v212, v212, v214
	v_mfma_f32_16x16x16_f16 a[0:3], v[202:203], v[28:29], a[0:3]
	ds_read_u16 v98, v168 offset:8832
	ds_read_u16 v199, v169 offset:9104
	;; [unrolled: 1-line block ×4, first 2 shown]
	s_waitcnt lgkmcnt(0)
	v_perm_b32 v203, v202, v201, s96
	s_nop 1
	v_accvgpr_read_b32 v92, a1
	v_accvgpr_read_b32 v94, a2
	;; [unrolled: 1-line block ×3, first 2 shown]
	v_cvt_f16_f32_e32 v92, v92
	v_cvt_f16_f32_e32 v94, v94
	;; [unrolled: 1-line block ×3, first 2 shown]
	v_accvgpr_read_b32 v77, a0
	v_cvt_f16_f32_e32 v77, v77
	v_cvt_f32_f16_e32 v92, v92
	v_cvt_f32_f16_e32 v94, v94
	;; [unrolled: 1-line block ×4, first 2 shown]
	v_perm_b32 v202, v199, v98, s96
	v_accvgpr_write_b32 a1, v92
	v_accvgpr_write_b32 a2, v94
	;; [unrolled: 1-line block ×3, first 2 shown]
	ds_read_u16 v92, v168 offset:160
	ds_read_u16 v94, v169 offset:432
	;; [unrolled: 1-line block ×4, first 2 shown]
	v_accvgpr_write_b32 a0, v77
	v_cvt_f32_f16_e32 v199, v251
	v_cvt_f32_f16_sdwa v201, v251 dst_sel:DWORD dst_unused:UNUSED_PAD src0_sel:WORD_1
	v_mfma_f32_16x16x16_f16 a[0:3], v[202:203], v[26:27], a[0:3]
	s_waitcnt lgkmcnt(0)
	v_perm_b32 v203, v98, v96, s96
	v_perm_b32 v202, v94, v92, s96
	s_nop 4
	v_accvgpr_read_b32 v216, a0
	v_accvgpr_read_b32 v218, a1
	;; [unrolled: 1-line block ×4, first 2 shown]
	v_accvgpr_write_b32 a0, v199
	v_accvgpr_write_b32 a1, v201
	;; [unrolled: 1-line block ×4, first 2 shown]
	v_cvt_f32_f16_sdwa v209, v245 dst_sel:DWORD dst_unused:UNUSED_PAD src0_sel:WORD_1
	v_cvt_f32_f16_e32 v211, v244
	v_mfma_f32_16x16x16_f16 a[0:3], v[202:203], v[28:29], a[0:3]
	ds_read_u16 v199, v168 offset:8864
	ds_read_u16 v201, v169 offset:9136
	;; [unrolled: 1-line block ×4, first 2 shown]
	s_waitcnt lgkmcnt(0)
	v_perm_b32 v203, v203, v202, s96
	s_nop 1
	v_accvgpr_read_b32 v92, a0
	v_accvgpr_read_b32 v94, a1
	v_accvgpr_read_b32 v96, a2
	v_cvt_f16_f32_e32 v92, v92
	v_cvt_f16_f32_e32 v94, v94
	;; [unrolled: 1-line block ×3, first 2 shown]
	v_accvgpr_read_b32 v98, a3
	v_cvt_f16_f32_e32 v98, v98
	v_cvt_f32_f16_e32 v92, v92
	v_cvt_f32_f16_e32 v94, v94
	v_cvt_f32_f16_e32 v96, v96
	v_cvt_f32_f16_e32 v98, v98
	v_perm_b32 v202, v201, v199, s96
	v_accvgpr_write_b32 a0, v92
	v_accvgpr_write_b32 a1, v94
	;; [unrolled: 1-line block ×3, first 2 shown]
	ds_read_u16 v92, v168 offset:192
	ds_read_u16 v94, v169 offset:464
	ds_read_u16 v96, v170 offset:192
	ds_read_u16 v199, v171 offset:464
	v_accvgpr_write_b32 a3, v98
	v_cvt_f32_f16_e32 v201, v245
	s_nop 0
	v_mfma_f32_16x16x16_f16 a[0:3], v[202:203], v[26:27], a[0:3]
	s_waitcnt lgkmcnt(0)
	v_perm_b32 v203, v199, v96, s96
	v_perm_b32 v202, v94, v92, s96
	s_nop 4
	v_accvgpr_read_b32 v250, a0
	v_accvgpr_read_b32 v251, a1
	;; [unrolled: 1-line block ×4, first 2 shown]
	v_accvgpr_write_b32 a0, v201
	v_accvgpr_write_b32 a1, v209
	;; [unrolled: 1-line block ×4, first 2 shown]
	v_cvt_f32_f16_sdwa v211, v243 dst_sel:DWORD dst_unused:UNUSED_PAD src0_sel:WORD_1
	v_cvt_pk_f16_f32 v250, v250, v251
	v_mfma_f32_16x16x16_f16 a[0:3], v[202:203], v[28:29], a[0:3]
	ds_read_u16 v201, v168 offset:8896
	ds_read_u16 v202, v169 offset:9168
	;; [unrolled: 1-line block ×4, first 2 shown]
	s_waitcnt lgkmcnt(2)
	v_perm_b32 v202, v202, v201, s96
	s_waitcnt lgkmcnt(0)
	v_perm_b32 v203, v209, v203, s96
	v_accvgpr_read_b32 v92, a0
	v_accvgpr_read_b32 v94, a1
	;; [unrolled: 1-line block ×3, first 2 shown]
	v_cvt_f16_f32_e32 v92, v92
	v_cvt_f16_f32_e32 v94, v94
	;; [unrolled: 1-line block ×3, first 2 shown]
	v_accvgpr_read_b32 v96, a2
	v_cvt_f16_f32_e32 v96, v96
	v_cvt_f32_f16_e32 v92, v92
	v_cvt_f32_f16_e32 v94, v94
	;; [unrolled: 1-line block ×4, first 2 shown]
	v_accvgpr_write_b32 a0, v92
	v_accvgpr_write_b32 a1, v94
	;; [unrolled: 1-line block ×3, first 2 shown]
	ds_read_u16 v92, v168 offset:224
	ds_read_u16 v94, v169 offset:496
	;; [unrolled: 1-line block ×4, first 2 shown]
	v_accvgpr_write_b32 a2, v96
	v_cvt_f32_f16_e32 v209, v243
	v_cvt_f32_f16_e32 v243, v119
	v_mfma_f32_16x16x16_f16 a[0:3], v[202:203], v[26:27], a[0:3]
	v_cvt_f32_f16_sdwa v119, v119 dst_sel:DWORD dst_unused:UNUSED_PAD src0_sel:WORD_1
	s_waitcnt lgkmcnt(0)
	v_perm_b32 v203, v201, v199, s96
	v_perm_b32 v202, v94, v92, s96
	s_nop 3
	v_accvgpr_read_b32 v244, a0
	v_accvgpr_read_b32 v245, a1
	;; [unrolled: 1-line block ×4, first 2 shown]
	v_accvgpr_write_b32 a0, v209
	v_accvgpr_write_b32 a1, v211
	;; [unrolled: 1-line block ×4, first 2 shown]
	v_cvt_pk_f16_f32 v244, v244, v245
	v_cvt_pk_f16_f32 v245, v215, v98
	v_mfma_f32_16x16x16_f16 a[0:3], v[202:203], v[28:29], a[0:3]
	s_nop 7
	v_accvgpr_read_b32 v92, a2
	v_cvt_f16_f32_e32 v119, v92
	v_accvgpr_read_b32 v92, a3
	v_accvgpr_read_b32 v28, a0
	;; [unrolled: 1-line block ×3, first 2 shown]
	v_cvt_f16_f32_e32 v243, v92
	ds_read_u16 v202, v168 offset:8928
	ds_read_u16 v94, v169 offset:9200
	;; [unrolled: 1-line block ×4, first 2 shown]
	v_cvt_f16_f32_e32 v28, v28
	v_cvt_f16_f32_e32 v29, v29
	v_cvt_f32_f16_e32 v119, v119
	v_cvt_f32_f16_e32 v203, v243
	;; [unrolled: 1-line block ×4, first 2 shown]
	s_waitcnt lgkmcnt(0)
	v_perm_b32 v29, v92, v211, s96
	v_perm_b32 v28, v94, v202, s96
	v_accvgpr_write_b32 a0, v199
	v_accvgpr_write_b32 a1, v201
	v_accvgpr_write_b32 a2, v119
	v_accvgpr_write_b32 a3, v203
	v_cvt_pk_f16_f32 v243, v96, v213
	s_nop 0
	v_mfma_f32_16x16x16_f16 a[0:3], v[28:29], v[26:27], a[0:3]
	s_barrier
	s_nop 6
	v_accvgpr_read_b32 v26, a0
	v_accvgpr_read_b32 v27, a1
	v_accvgpr_read_b32 v28, a2
	v_accvgpr_read_b32 v29, a3
	v_cvt_pk_f16_f32 v119, v26, v27
	v_cvt_pk_f16_f32 v202, v28, v29
	;; [unrolled: 1-line block ×10, first 2 shown]
	s_cbranch_scc0 .LBB0_217
; %bb.215:                              ;   in Loop: Header=BB0_214 Depth=2
	v_mov_b32_e32 v94, v115
	v_mov_b32_e32 v96, v113
	s_and_saveexec_b64 s[10:11], s[0:1]
	s_cbranch_execnz .LBB0_213
	s_branch .LBB0_214
.LBB0_216:                              ;   in Loop: Header=BB0_12 Depth=1
	v_mov_b32_e32 v113, 0xfeffffff
	v_mov_b32_e32 v115, 0
	s_mov_b64 s[10:11], 0
	v_mov_b32_e32 v198, 0
	v_mov_b32_e32 v200, 0
	;; [unrolled: 1-line block ×16, first 2 shown]
	s_and_saveexec_b64 s[14:15], s[0:1]
	s_cbranch_execnz .LBB0_218
	s_branch .LBB0_219
.LBB0_217:                              ;   in Loop: Header=BB0_12 Depth=1
	s_lshl_b32 s62, s14, 6
	s_mov_b64 s[10:11], s[62:63]
	s_and_saveexec_b64 s[14:15], s[0:1]
	s_cbranch_execz .LBB0_219
.LBB0_218:                              ;   in Loop: Header=BB0_12 Depth=1
	v_add_u32_e32 v36, v111, v71
	v_lshl_or_b32 v36, v36, 1, v91
	v_mul_hi_u32 v77, s44, v36
	v_add_u32_e32 v77, v36, v77
	v_lshrrev_b32_e32 v77, s45, v77
	v_mul_lo_u32 v77, v77, s36
	s_lshl_b64 s[76:77], s[10:11], 1
	v_sub_u32_e32 v36, v36, v77
	v_lshl_add_u64 v[144:145], v[144:145], 0, s[76:77]
	v_mad_i64_i32 v[146:147], s[76:77], v36, s46, 0
	v_lshl_add_u64 v[144:145], v[146:147], 1, v[144:145]
	v_lshlrev_b32_e32 v36, 1, v34
	v_lshl_add_u64 v[144:145], v[144:145], 0, v[36:37]
	global_load_dword v36, v[144:145], off
	s_waitcnt vmcnt(0)
	ds_write_b32 v95, v36 offset:17408
.LBB0_219:                              ;   in Loop: Header=BB0_12 Depth=1
	s_or_b64 exec, exec, s[14:15]
	s_mul_i32 s11, s10, s39
	s_mul_hi_u32 s14, s10, s38
	s_add_i32 s15, s14, s11
	s_mul_i32 s14, s10, s38
	s_lshl_b64 s[14:15], s[14:15], 2
	v_lshl_add_u64 v[146:147], v[142:143], 0, s[14:15]
	v_lshl_add_u64 v[142:143], v[52:53], 2, v[146:147]
	v_lshlrev_b32_e32 v36, 2, v48
	v_lshl_add_u64 v[142:143], v[142:143], 0, v[36:37]
	global_load_dwordx4 v[142:145], v[142:143], off offset:256
	v_add_u32_e32 v77, 0x2000, v166
	s_mul_i32 s11, s10, s35
	s_mul_hi_u32 s14, s10, s34
	s_add_i32 s11, s14, s11
	s_mul_i32 s10, s10, s34
	s_lshl_b64 s[10:11], s[10:11], 2
	s_waitcnt vmcnt(0)
	ds_write_b128 v97, v[142:145]
	v_lshl_add_u64 v[142:143], v[38:39], 2, v[146:147]
	v_lshl_add_u64 v[142:143], v[142:143], 0, v[36:37]
	global_load_dwordx4 v[142:145], v[142:143], off offset:256
	v_lshlrev_b32_e32 v36, 2, v104
	s_waitcnt vmcnt(0)
	ds_write_b128 v99, v[142:145]
	s_waitcnt lgkmcnt(0)
	s_barrier
	ds_read2_b64 v[142:145], v166 offset1:4
	s_waitcnt lgkmcnt(0)
	v_mfma_f32_16x16x16_f16 a[0:3], v[142:143], v[22:23], 0
	v_mfma_f32_16x16x16_f16 a[0:3], v[144:145], v[24:25], a[0:3]
	ds_read2_b64 v[142:145], v166 offset0:8 offset1:12
	s_waitcnt lgkmcnt(0)
	v_mfma_f32_16x16x16_f16 a[0:3], v[142:143], v[18:19], a[0:3]
	v_mfma_f32_16x16x16_f16 a[0:3], v[144:145], v[20:21], a[0:3]
	ds_read2_b64 v[142:145], v77 offset0:64 offset1:68
	;; [unrolled: 4-line block ×3, first 2 shown]
	s_waitcnt lgkmcnt(0)
	s_barrier
	v_mfma_f32_16x16x16_f16 a[4:7], v[22:23], v[18:19], a[4:7]
	v_lshl_add_u64 v[18:19], v[40:41], 2, v[146:147]
	v_lshl_add_u64 v[18:19], v[18:19], 0, v[36:37]
	v_mfma_f32_16x16x16_f16 a[4:7], v[24:25], v[20:21], a[4:7]
	global_load_dwordx4 v[18:21], v[18:19], off
	s_waitcnt vmcnt(0)
	ds_write_b128 v175, v[18:21]
	v_lshl_add_u64 v[18:19], v[42:43], 2, v[146:147]
	v_lshl_add_u64 v[18:19], v[18:19], 0, v[36:37]
	global_load_dwordx4 v[18:21], v[18:19], off
	s_waitcnt vmcnt(0)
	ds_write_b128 v220, v[18:21]
	v_lshl_add_u64 v[18:19], v[44:45], 2, v[146:147]
	v_lshl_add_u64 v[18:19], v[18:19], 0, v[36:37]
	;; [unrolled: 5-line block ×3, first 2 shown]
	global_load_dwordx4 v[18:21], v[18:19], off
	s_waitcnt vmcnt(0)
	ds_write_b128 v222, v[18:21]
	s_waitcnt lgkmcnt(0)
	s_barrier
	ds_read2_b64 v[18:21], v166 offset1:4
	s_waitcnt lgkmcnt(0)
	v_mfma_f32_16x16x16_f16 a[0:3], v[18:19], v[14:15], a[0:3]
	v_mfma_f32_16x16x16_f16 a[0:3], v[20:21], v[16:17], a[0:3]
	ds_read2_b64 v[18:21], v166 offset0:8 offset1:12
	s_waitcnt lgkmcnt(0)
	v_mfma_f32_16x16x16_f16 a[0:3], v[18:19], v[10:11], a[0:3]
	v_mfma_f32_16x16x16_f16 a[0:3], v[20:21], v[12:13], a[0:3]
	ds_read2_b64 v[18:21], v166 offset0:16 offset1:20
	;; [unrolled: 4-line block ×7, first 2 shown]
	s_waitcnt lgkmcnt(0)
	s_barrier
	v_mfma_f32_16x16x16_f16 a[4:7], v[6:7], v[2:3], a[4:7]
	v_add_u32_e32 v2, 0x4400, v167
	ds_read2_b32 v[2:3], v2 offset1:1
	v_mfma_f32_16x16x16_f16 a[4:7], v[8:9], v[4:5], a[4:7]
	v_accvgpr_read_b32 v5, a0
	v_accvgpr_read_b32 v6, a2
	s_waitcnt lgkmcnt(0)
	v_cvt_f32_f16_e32 v4, v2
	v_cvt_f32_f16_sdwa v2, v2 dst_sel:DWORD dst_unused:UNUSED_PAD src0_sel:WORD_1
	v_add_f32_e32 v4, v5, v4
	v_accvgpr_read_b32 v5, a1
	v_add_f32_e32 v2, v5, v2
	v_cvt_f32_f16_e32 v5, v3
	v_cvt_f32_f16_sdwa v3, v3 dst_sel:DWORD dst_unused:UNUSED_PAD src0_sel:WORD_1
	v_accvgpr_read_b32 v8, a4
	v_add_f32_e32 v5, v6, v5
	v_accvgpr_read_b32 v6, a3
	v_add_f32_e32 v3, v6, v3
	ds_read_b32 v6, v176 offset:17408
	s_waitcnt lgkmcnt(0)
	v_cvt_f32_f16_e32 v7, v6
	v_cvt_f32_f16_sdwa v6, v6 dst_sel:DWORD dst_unused:UNUSED_PAD src0_sel:WORD_1
	v_add_f32_e32 v9, v8, v7
	v_accvgpr_read_b32 v7, a5
	v_add_f32_e32 v10, v7, v6
	ds_read_b32 v6, v177 offset:17408
	v_accvgpr_read_b32 v8, a6
	s_waitcnt lgkmcnt(0)
	v_cvt_f32_f16_e32 v7, v6
	v_cvt_f32_f16_sdwa v6, v6 dst_sel:DWORD dst_unused:UNUSED_PAD src0_sel:WORD_1
	v_add_f32_e32 v11, v8, v7
	v_accvgpr_read_b32 v7, a7
	v_add_f32_e32 v12, v7, v6
	v_add_f32_e32 v6, 0x40051340, v4
	;; [unrolled: 1-line block ×3, first 2 shown]
	v_max3_f32 v6, v113, v6, v7
	v_add_f32_e32 v7, 0x40051340, v5
	v_add_f32_e32 v8, 0x40051340, v3
	v_max3_f32 v6, v6, v7, v8
	v_add_f32_e32 v7, 0x40051340, v9
	v_add_f32_e32 v8, 0x40051340, v10
	;; [unrolled: 3-line block ×3, first 2 shown]
	v_max3_f32 v6, v6, v7, v8
	v_and_b32_e32 v7, 64, v241
	v_add_u32_e32 v8, 64, v7
	v_xor_b32_e32 v7, 32, v241
	v_cmp_lt_i32_e32 vcc, v7, v8
	s_nop 1
	v_cndmask_b32_e32 v7, v241, v7, vcc
	v_lshlrev_b32_e32 v7, 2, v7
	ds_bpermute_b32 v13, v7, v6
	s_waitcnt lgkmcnt(0)
	v_max_f32_e32 v13, v13, v13
	v_max_f32_e32 v6, v6, v13
	v_xor_b32_e32 v13, 16, v241
	v_cmp_lt_i32_e32 vcc, v13, v8
	s_nop 1
	v_cndmask_b32_e32 v8, v241, v13, vcc
	v_lshlrev_b32_e32 v8, 2, v8
	ds_bpermute_b32 v13, v8, v6
	s_waitcnt lgkmcnt(0)
	v_max_f32_e32 v13, v13, v13
	v_max_f32_e32 v6, v6, v13
	v_sub_f32_e32 v4, v4, v6
	v_mul_f32_e32 v13, 0x3fb8aa3b, v4
	v_fma_f32 v14, v4, s47, -v13
	v_rndne_f32_e32 v15, v13
	v_fmac_f32_e32 v14, 0x32a5705f, v4
	v_sub_f32_e32 v13, v13, v15
	v_add_f32_e32 v13, v13, v14
	v_exp_f32_e32 v13, v13
	v_cvt_i32_f32_e32 v14, v15
	v_cmp_ngt_f32_e32 vcc, s69, v4
	v_sub_f32_e32 v2, v2, v6
	v_sub_f32_e32 v3, v3, v6
	v_ldexp_f32 v13, v13, v14
	v_cndmask_b32_e32 v13, 0, v13, vcc
	v_cmp_nlt_f32_e32 vcc, s94, v4
	v_mul_f32_e32 v4, 0x3fb8aa3b, v2
	v_rndne_f32_e32 v15, v4
	v_cndmask_b32_e32 v14, v242, v13, vcc
	v_fma_f32 v13, v2, s47, -v4
	v_fmac_f32_e32 v13, 0x32a5705f, v2
	v_sub_f32_e32 v4, v4, v15
	v_add_f32_e32 v4, v4, v13
	v_exp_f32_e32 v4, v4
	v_cvt_i32_f32_e32 v13, v15
	v_cmp_ngt_f32_e32 vcc, s69, v2
	v_ldexp_f32 v4, v4, v13
	s_nop 0
	v_cndmask_b32_e32 v4, 0, v4, vcc
	v_cmp_nlt_f32_e32 vcc, s94, v2
	s_nop 1
	v_cndmask_b32_e32 v15, v242, v4, vcc
	v_sub_f32_e32 v4, v5, v6
	v_mul_f32_e32 v5, 0x3fb8aa3b, v4
	v_fma_f32 v13, v4, s47, -v5
	v_rndne_f32_e32 v16, v5
	v_fmac_f32_e32 v13, 0x32a5705f, v4
	v_sub_f32_e32 v5, v5, v16
	v_add_f32_e32 v5, v5, v13
	v_exp_f32_e32 v5, v5
	v_cvt_i32_f32_e32 v13, v16
	v_cmp_ngt_f32_e32 vcc, s69, v4
	v_add_f32_e32 v2, v14, v15
	v_ldexp_f32 v5, v5, v13
	v_cndmask_b32_e32 v5, 0, v5, vcc
	v_cmp_nlt_f32_e32 vcc, s94, v4
	v_mul_f32_e32 v4, 0x3fb8aa3b, v3
	v_rndne_f32_e32 v13, v4
	v_cndmask_b32_e32 v18, v242, v5, vcc
	v_fma_f32 v5, v3, s47, -v4
	v_fmac_f32_e32 v5, 0x32a5705f, v3
	v_sub_f32_e32 v4, v4, v13
	v_add_f32_e32 v4, v4, v5
	v_exp_f32_e32 v4, v4
	v_cvt_i32_f32_e32 v5, v13
	v_cmp_ngt_f32_e32 vcc, s69, v3
	v_add_f32_e32 v2, v18, v2
	v_ldexp_f32 v4, v4, v5
	v_cndmask_b32_e32 v4, 0, v4, vcc
	v_cmp_nlt_f32_e32 vcc, s94, v3
	v_sub_f32_e32 v3, v9, v6
	s_nop 0
	v_cndmask_b32_e32 v20, v242, v4, vcc
	v_mul_f32_e32 v4, 0x3fb8aa3b, v3
	v_fma_f32 v5, v3, s47, -v4
	v_rndne_f32_e32 v9, v4
	v_fmac_f32_e32 v5, 0x32a5705f, v3
	v_sub_f32_e32 v4, v4, v9
	v_add_f32_e32 v4, v4, v5
	v_exp_f32_e32 v4, v4
	v_cvt_i32_f32_e32 v5, v9
	v_cmp_ngt_f32_e32 vcc, s69, v3
	v_add_f32_e32 v2, v20, v2
	v_ldexp_f32 v4, v4, v5
	v_cndmask_b32_e32 v4, 0, v4, vcc
	v_cmp_nlt_f32_e32 vcc, s94, v3
	v_sub_f32_e32 v3, v10, v6
	s_nop 0
	v_cndmask_b32_e32 v19, v242, v4, vcc
	v_mul_f32_e32 v4, 0x3fb8aa3b, v3
	v_fma_f32 v5, v3, s47, -v4
	v_rndne_f32_e32 v9, v4
	;; [unrolled: 16-line block ×4, first 2 shown]
	v_fmac_f32_e32 v5, 0x32a5705f, v3
	v_sub_f32_e32 v4, v4, v9
	v_add_f32_e32 v4, v4, v5
	v_exp_f32_e32 v4, v4
	v_cvt_i32_f32_e32 v5, v9
	v_cmp_ngt_f32_e32 vcc, s69, v3
	v_add_f32_e32 v2, v22, v2
	v_ldexp_f32 v4, v4, v5
	v_cndmask_b32_e32 v4, 0, v4, vcc
	v_cmp_nlt_f32_e32 vcc, s94, v3
	s_nop 1
	v_cndmask_b32_e32 v23, v242, v4, vcc
	v_add_f32_e32 v9, v23, v2
	v_sub_f32_e32 v2, v113, v6
	v_mul_f32_e32 v3, 0x3fb8aa3b, v2
	v_fma_f32 v4, v2, s47, -v3
	v_rndne_f32_e32 v5, v3
	v_fmac_f32_e32 v4, 0x32a5705f, v2
	v_sub_f32_e32 v3, v3, v5
	v_add_f32_e32 v3, v3, v4
	v_exp_f32_e32 v3, v3
	v_cvt_i32_f32_e32 v4, v5
	v_cmp_ngt_f32_e32 vcc, s69, v2
	v_ldexp_f32 v3, v3, v4
	s_nop 0
	v_cndmask_b32_e32 v3, 0, v3, vcc
	v_cmp_nlt_f32_e32 vcc, s94, v2
	s_nop 1
	v_cndmask_b32_e32 v3, v242, v3, vcc
	v_cmp_le_f32_e32 vcc, s95, v2
	s_nop 1
	v_cndmask_b32_e32 v2, 0, v3, vcc
	v_fmac_f32_e32 v9, v115, v2
	v_cvt_f16_f32_e32 v2, v2
	ds_bpermute_b32 v7, v7, v9
	v_cmp_ne_u64_e32 vcc, 0, v[138:139]
	s_and_b64 s[14:15], s[12:13], vcc
	v_mul_u32_u24_e32 v2, 0x10001, v2
	v_pk_mul_f16 v117, v200, v2
	v_pk_mul_f16 v115, v198, v2
	;; [unrolled: 1-line block ×16, first 2 shown]
	v_lshl_add_u64 v[2:3], v[140:141], 0, s[10:11]
	v_lshl_add_u64 v[4:5], v[56:57], 2, v[2:3]
	;; [unrolled: 1-line block ×7, first 2 shown]
	global_load_dwordx4 v[2:5], v[4:5], off
	v_lshl_add_u64 v[140:141], v[140:141], 0, v[36:37]
	v_lshl_add_u64 v[142:143], v[142:143], 0, v[36:37]
	v_cvt_f32_f16_e32 v36, v117
	v_cvt_f32_f16_sdwa v77, v117 dst_sel:DWORD dst_unused:UNUSED_PAD src0_sel:WORD_1
	v_cvt_f32_f16_e32 v92, v115
	v_cvt_f32_f16_sdwa v94, v115 dst_sel:DWORD dst_unused:UNUSED_PAD src0_sel:WORD_1
	v_accvgpr_write_b32 a0, v36
	v_accvgpr_write_b32 a1, v77
	;; [unrolled: 1-line block ×4, first 2 shown]
	v_cvt_f32_f16_e32 v146, v16
	v_cvt_f32_f16_sdwa v147, v16 dst_sel:DWORD dst_unused:UNUSED_PAD src0_sel:WORD_1
	v_cvt_f32_f16_sdwa v148, v13 dst_sel:DWORD dst_unused:UNUSED_PAD src0_sel:WORD_1
	v_cvt_f32_f16_e32 v149, v12
	v_cvt_f32_f16_sdwa v150, v12 dst_sel:DWORD dst_unused:UNUSED_PAD src0_sel:WORD_1
	v_cvt_f32_f16_sdwa v151, v11 dst_sel:DWORD dst_unused:UNUSED_PAD src0_sel:WORD_1
	v_cvt_f32_f16_e32 v152, v10
	v_cvt_f32_f16_sdwa v153, v10 dst_sel:DWORD dst_unused:UNUSED_PAD src0_sel:WORD_1
	s_waitcnt lgkmcnt(0)
	v_add_f32_e32 v7, v9, v7
	ds_bpermute_b32 v9, v8, v7
	s_waitcnt lgkmcnt(0)
	v_add_f32_e32 v7, v7, v9
	s_waitcnt vmcnt(0)
	ds_write_b128 v175, v[2:5]
	global_load_dwordx4 v[2:5], v[140:141], off
	s_waitcnt vmcnt(0)
	ds_write_b128 v220, v[2:5]
	global_load_dwordx4 v[2:5], v[142:143], off
	v_cvt_f32_f16_sdwa v142, v27 dst_sel:DWORD dst_unused:UNUSED_PAD src0_sel:WORD_1
	v_cvt_f32_f16_e32 v143, v26
	s_waitcnt vmcnt(0)
	ds_write_b128 v221, v[2:5]
	global_load_dwordx4 v[2:5], v[144:145], off
	v_cvt_f32_f16_sdwa v144, v26 dst_sel:DWORD dst_unused:UNUSED_PAD src0_sel:WORD_1
	v_cvt_f32_f16_sdwa v145, v17 dst_sel:DWORD dst_unused:UNUSED_PAD src0_sel:WORD_1
	s_waitcnt vmcnt(0)
	ds_write_b128 v222, v[2:5]
	s_waitcnt lgkmcnt(0)
	s_barrier
	ds_read_u16 v2, v170
	ds_read_u16 v96, v170 offset:32
	ds_read_u16 v3, v171 offset:272
	;; [unrolled: 1-line block ×3, first 2 shown]
	v_cvt_pk_f16_f32 v5, v18, v20
	s_waitcnt lgkmcnt(1)
	v_perm_b32 v3, v3, v2, s96
	ds_read_u16 v2, v168
	ds_read_u16 v115, v168 offset:32
	ds_read_u16 v4, v169 offset:272
	;; [unrolled: 1-line block ×7, first 2 shown]
	s_waitcnt lgkmcnt(5)
	v_perm_b32 v2, v4, v2, s96
	v_cvt_pk_f16_f32 v4, v14, v15
	s_nop 1
	v_mfma_f32_16x16x16_f16 a[0:3], v[2:3], v[4:5], a[0:3]
	s_nop 7
	v_accvgpr_read_b32 v2, a0
	v_accvgpr_read_b32 v3, a1
	;; [unrolled: 1-line block ×4, first 2 shown]
	v_cvt_f16_f32_e32 v2, v2
	v_cvt_f16_f32_e32 v3, v3
	;; [unrolled: 1-line block ×4, first 2 shown]
	v_cvt_f32_f16_e32 v92, v2
	v_cvt_f32_f16_e32 v94, v3
	;; [unrolled: 1-line block ×4, first 2 shown]
	s_waitcnt lgkmcnt(0)
	v_perm_b32 v15, v77, v36, s96
	v_perm_b32 v14, v20, v18, s96
	v_cvt_pk_f16_f32 v3, v22, v23
	v_cvt_pk_f16_f32 v2, v19, v21
	v_accvgpr_write_b32 a0, v92
	v_accvgpr_write_b32 a1, v94
	;; [unrolled: 1-line block ×4, first 2 shown]
	v_cvt_f32_f16_e32 v36, v24
	v_cvt_f32_f16_sdwa v24, v24 dst_sel:DWORD dst_unused:UNUSED_PAD src0_sel:WORD_1
	v_mfma_f32_16x16x16_f16 a[0:3], v[14:15], v[2:3], a[0:3]
	v_perm_b32 v23, v98, v96, s96
	v_perm_b32 v22, v117, v115, s96
	v_cvt_f32_f16_sdwa v98, v113 dst_sel:DWORD dst_unused:UNUSED_PAD src0_sel:WORD_1
	v_cvt_f32_f16_e32 v119, v29
	v_cvt_f32_f16_sdwa v29, v29 dst_sel:DWORD dst_unused:UNUSED_PAD src0_sel:WORD_1
	s_nop 2
	v_accvgpr_read_b32 v14, a2
	v_accvgpr_read_b32 v15, a3
	v_cvt_f16_f32_e32 v14, v14
	v_cvt_f16_f32_e32 v15, v15
	v_accvgpr_read_b32 v18, a0
	v_accvgpr_read_b32 v19, a1
	v_accvgpr_write_b32 a2, v36
	v_perm_b32 v14, v15, v14, s96
	v_cvt_f32_f16_e32 v15, v25
	v_cvt_f32_f16_sdwa v25, v25 dst_sel:DWORD dst_unused:UNUSED_PAD src0_sel:WORD_1
	v_accvgpr_write_b32 a3, v24
	v_cvt_f16_f32_e32 v20, v18
	v_accvgpr_write_b32 a0, v15
	v_accvgpr_write_b32 a1, v25
	ds_read_u16 v25, v168 offset:8736
	ds_read_u16 v36, v169 offset:9008
	;; [unrolled: 1-line block ×4, first 2 shown]
	v_mfma_f32_16x16x16_f16 a[0:3], v[22:23], v[4:5], a[0:3]
	v_cvt_f16_f32_e32 v21, v19
	v_perm_b32 v20, v21, v20, s96
	s_nop 5
	v_accvgpr_read_b32 v15, a0
	v_accvgpr_read_b32 v22, a1
	;; [unrolled: 1-line block ×4, first 2 shown]
	v_cvt_f16_f32_e32 v15, v15
	v_cvt_f16_f32_e32 v22, v22
	;; [unrolled: 1-line block ×4, first 2 shown]
	v_cvt_f32_f16_e32 v15, v15
	v_cvt_f32_f16_e32 v94, v22
	;; [unrolled: 1-line block ×4, first 2 shown]
	s_waitcnt lgkmcnt(0)
	v_perm_b32 v23, v92, v77, s96
	v_perm_b32 v22, v36, v25, s96
	v_accvgpr_write_b32 a0, v15
	v_accvgpr_write_b32 a1, v94
	;; [unrolled: 1-line block ×4, first 2 shown]
	v_cvt_f32_f16_e32 v96, v113
	v_cvt_f32_f16_e32 v113, v28
	v_mfma_f32_16x16x16_f16 a[0:3], v[22:23], v[2:3], a[0:3]
	v_cvt_f32_f16_sdwa v28, v28 dst_sel:DWORD dst_unused:UNUSED_PAD src0_sel:WORD_1
	s_nop 6
	v_accvgpr_read_b32 v15, a2
	v_accvgpr_read_b32 v36, a3
	v_cvt_f16_f32_e32 v15, v15
	v_cvt_f16_f32_e32 v36, v36
	v_accvgpr_read_b32 v22, a0
	v_accvgpr_read_b32 v23, a1
	v_accvgpr_write_b32 a0, v96
	v_perm_b32 v15, v36, v15, s96
	ds_read_u16 v36, v168 offset:64
	ds_read_u16 v77, v169 offset:336
	;; [unrolled: 1-line block ×4, first 2 shown]
	v_accvgpr_write_b32 a1, v98
	v_accvgpr_write_b32 a2, v113
	s_waitcnt lgkmcnt(2)
	v_perm_b32 v140, v77, v36, s96
	v_accvgpr_write_b32 a3, v28
	s_waitcnt lgkmcnt(0)
	v_perm_b32 v141, v94, v92, s96
	ds_read_u16 v94, v168 offset:8768
	ds_read_u16 v96, v169 offset:9040
	;; [unrolled: 1-line block ×4, first 2 shown]
	v_mfma_f32_16x16x16_f16 a[0:3], v[140:141], v[4:5], a[0:3]
	s_waitcnt lgkmcnt(0)
	v_perm_b32 v141, v113, v98, s96
	v_perm_b32 v140, v96, v94, s96
	v_cvt_f32_f16_e32 v98, v111
	v_cvt_f32_f16_sdwa v111, v111 dst_sel:DWORD dst_unused:UNUSED_PAD src0_sel:WORD_1
	v_cvt_f16_f32_e32 v24, v22
	s_nop 1
	v_accvgpr_read_b32 v28, a0
	v_accvgpr_read_b32 v36, a1
	;; [unrolled: 1-line block ×4, first 2 shown]
	v_cvt_f16_f32_e32 v28, v28
	v_cvt_f16_f32_e32 v36, v36
	v_cvt_f16_f32_e32 v77, v77
	v_cvt_f16_f32_e32 v92, v92
	v_cvt_f32_f16_e32 v28, v28
	v_cvt_f32_f16_e32 v36, v36
	;; [unrolled: 1-line block ×4, first 2 shown]
	v_accvgpr_write_b32 a0, v28
	v_accvgpr_write_b32 a1, v36
	;; [unrolled: 1-line block ×4, first 2 shown]
	v_cvt_f16_f32_e32 v25, v23
	v_perm_b32 v24, v25, v24, s96
	v_mfma_f32_16x16x16_f16 a[0:3], v[140:141], v[2:3], a[0:3]
	s_nop 7
	v_accvgpr_read_b32 v28, a2
	v_accvgpr_read_b32 v77, a3
	v_cvt_f16_f32_e32 v28, v28
	v_cvt_f16_f32_e32 v77, v77
	v_accvgpr_read_b32 v36, a0
	v_accvgpr_read_b32 v113, a1
	v_accvgpr_write_b32 a0, v98
	v_perm_b32 v28, v77, v28, s96
	ds_read_u16 v77, v168 offset:96
	ds_read_u16 v92, v169 offset:368
	;; [unrolled: 1-line block ×4, first 2 shown]
	v_accvgpr_write_b32 a1, v111
	v_accvgpr_write_b32 a2, v119
	s_waitcnt lgkmcnt(2)
	v_perm_b32 v140, v92, v77, s96
	v_accvgpr_write_b32 a3, v29
	s_waitcnt lgkmcnt(0)
	v_perm_b32 v141, v96, v94, s96
	ds_read_u16 v96, v168 offset:8800
	ds_read_u16 v98, v169 offset:9072
	;; [unrolled: 1-line block ×4, first 2 shown]
	v_mfma_f32_16x16x16_f16 a[0:3], v[140:141], v[4:5], a[0:3]
	s_waitcnt lgkmcnt(0)
	v_perm_b32 v141, v119, v111, s96
	v_perm_b32 v140, v98, v96, s96
	v_cvt_f32_f16_e32 v98, v27
	v_cvt_f16_f32_e32 v115, v36
	v_cvt_f16_f32_e32 v117, v113
	s_nop 1
	v_accvgpr_read_b32 v29, a0
	v_accvgpr_read_b32 v77, a1
	;; [unrolled: 1-line block ×4, first 2 shown]
	v_cvt_f16_f32_e32 v29, v29
	v_cvt_f16_f32_e32 v77, v77
	;; [unrolled: 1-line block ×4, first 2 shown]
	v_cvt_f32_f16_e32 v29, v29
	v_cvt_f32_f16_e32 v77, v77
	;; [unrolled: 1-line block ×4, first 2 shown]
	v_accvgpr_write_b32 a0, v29
	v_accvgpr_write_b32 a1, v77
	v_accvgpr_write_b32 a2, v92
	v_accvgpr_write_b32 a3, v94
	s_nop 1
	v_mfma_f32_16x16x16_f16 a[0:3], v[140:141], v[2:3], a[0:3]
	s_nop 7
	v_accvgpr_read_b32 v29, a2
	v_accvgpr_read_b32 v77, a3
	v_cvt_f16_f32_e32 v29, v29
	v_cvt_f16_f32_e32 v77, v77
	v_accvgpr_read_b32 v111, a0
	v_accvgpr_read_b32 v119, a1
	v_accvgpr_write_b32 a0, v98
	v_perm_b32 v29, v77, v29, s96
	ds_read_u16 v77, v168 offset:128
	ds_read_u16 v92, v169 offset:400
	ds_read_u16 v94, v170 offset:128
	ds_read_u16 v96, v171 offset:400
	v_accvgpr_write_b32 a1, v142
	v_accvgpr_write_b32 a2, v143
	s_waitcnt lgkmcnt(2)
	v_perm_b32 v26, v92, v77, s96
	v_accvgpr_write_b32 a3, v144
	s_waitcnt lgkmcnt(0)
	v_perm_b32 v27, v96, v94, s96
	ds_read_u16 v94, v168 offset:8832
	ds_read_u16 v96, v169 offset:9104
	ds_read_u16 v98, v170 offset:8832
	ds_read_u16 v142, v171 offset:9104
	v_mfma_f32_16x16x16_f16 a[0:3], v[26:27], v[4:5], a[0:3]
	v_cvt_f16_f32_e32 v140, v111
	v_cvt_f16_f32_e32 v141, v119
	s_nop 5
	v_accvgpr_read_b32 v26, a0
	v_accvgpr_read_b32 v27, a1
	v_accvgpr_read_b32 v77, a2
	v_accvgpr_read_b32 v92, a3
	v_cvt_f16_f32_e32 v26, v26
	v_cvt_f16_f32_e32 v27, v27
	v_cvt_f16_f32_e32 v77, v77
	v_cvt_f16_f32_e32 v92, v92
	v_cvt_f32_f16_e32 v143, v26
	v_cvt_f32_f16_e32 v144, v27
	v_cvt_f32_f16_e32 v77, v77
	v_cvt_f32_f16_e32 v92, v92
	s_waitcnt lgkmcnt(0)
	v_perm_b32 v27, v142, v98, s96
	v_perm_b32 v26, v96, v94, s96
	v_accvgpr_write_b32 a0, v143
	v_accvgpr_write_b32 a1, v144
	v_accvgpr_write_b32 a2, v77
	v_accvgpr_write_b32 a3, v92
	v_cvt_f32_f16_e32 v98, v17
	s_nop 0
	v_mfma_f32_16x16x16_f16 a[0:3], v[26:27], v[2:3], a[0:3]
	s_nop 7
	v_accvgpr_read_b32 v26, a2
	v_accvgpr_read_b32 v77, a3
	v_cvt_f16_f32_e32 v26, v26
	v_cvt_f16_f32_e32 v77, v77
	v_accvgpr_read_b32 v27, a0
	v_accvgpr_read_b32 v142, a1
	v_accvgpr_write_b32 a0, v98
	v_perm_b32 v26, v77, v26, s96
	ds_read_u16 v77, v168 offset:160
	ds_read_u16 v92, v169 offset:432
	ds_read_u16 v94, v170 offset:160
	ds_read_u16 v96, v171 offset:432
	v_accvgpr_write_b32 a1, v145
	v_accvgpr_write_b32 a2, v146
	s_waitcnt lgkmcnt(2)
	v_perm_b32 v16, v92, v77, s96
	v_accvgpr_write_b32 a3, v147
	s_waitcnt lgkmcnt(0)
	v_perm_b32 v17, v96, v94, s96
	ds_read_u16 v94, v168 offset:8864
	ds_read_u16 v96, v169 offset:9136
	ds_read_u16 v98, v170 offset:8864
	ds_read_u16 v145, v171 offset:9136
	v_mfma_f32_16x16x16_f16 a[0:3], v[16:17], v[4:5], a[0:3]
	v_cvt_f16_f32_e32 v143, v27
	v_cvt_f16_f32_e32 v144, v142
	s_nop 5
	v_accvgpr_read_b32 v16, a0
	v_accvgpr_read_b32 v17, a1
	v_accvgpr_read_b32 v77, a2
	v_accvgpr_read_b32 v92, a3
	v_cvt_f16_f32_e32 v16, v16
	v_cvt_f16_f32_e32 v17, v17
	v_cvt_f16_f32_e32 v77, v77
	v_cvt_f16_f32_e32 v92, v92
	v_cvt_f32_f16_e32 v146, v16
	v_cvt_f32_f16_e32 v147, v17
	v_cvt_f32_f16_e32 v77, v77
	v_cvt_f32_f16_e32 v92, v92
	s_waitcnt lgkmcnt(0)
	v_perm_b32 v17, v145, v98, s96
	v_perm_b32 v16, v96, v94, s96
	v_accvgpr_write_b32 a0, v146
	v_accvgpr_write_b32 a1, v147
	v_accvgpr_write_b32 a2, v77
	v_accvgpr_write_b32 a3, v92
	v_cvt_f32_f16_e32 v98, v13
	;; [unrolled: 50-line block ×3, first 2 shown]
	s_nop 0
	v_mfma_f32_16x16x16_f16 a[0:3], v[12:13], v[2:3], a[0:3]
	s_nop 7
	v_accvgpr_read_b32 v12, a2
	v_accvgpr_read_b32 v92, a3
	v_cvt_f16_f32_e32 v12, v12
	v_cvt_f16_f32_e32 v92, v92
	v_accvgpr_read_b32 v13, a0
	v_accvgpr_read_b32 v77, a1
	v_accvgpr_write_b32 a0, v150
	v_perm_b32 v12, v92, v12, s96
	ds_read_u16 v92, v168 offset:224
	ds_read_u16 v94, v169 offset:496
	;; [unrolled: 1-line block ×4, first 2 shown]
	v_accvgpr_write_b32 a1, v151
	v_accvgpr_write_b32 a2, v152
	s_waitcnt lgkmcnt(2)
	v_perm_b32 v10, v94, v92, s96
	v_accvgpr_write_b32 a3, v153
	s_waitcnt lgkmcnt(0)
	v_perm_b32 v11, v98, v96, s96
	v_cvt_f16_f32_e32 v148, v13
	v_cvt_f16_f32_e32 v149, v77
	v_mfma_f32_16x16x16_f16 a[0:3], v[10:11], v[4:5], a[0:3]
	v_perm_b32 v9, v149, v148, s96
	s_nop 6
	v_accvgpr_read_b32 v11, a3
	v_accvgpr_read_b32 v4, a0
	;; [unrolled: 1-line block ×4, first 2 shown]
	v_cvt_f16_f32_e32 v96, v11
	ds_read_u16 v11, v168 offset:8928
	ds_read_u16 v98, v169 offset:9200
	;; [unrolled: 1-line block ×4, first 2 shown]
	v_cvt_f16_f32_e32 v4, v4
	v_cvt_f16_f32_e32 v5, v5
	;; [unrolled: 1-line block ×3, first 2 shown]
	v_cvt_f32_f16_e32 v96, v96
	v_cvt_f32_f16_e32 v92, v4
	;; [unrolled: 1-line block ×4, first 2 shown]
	s_waitcnt lgkmcnt(0)
	v_perm_b32 v5, v150, v94, s96
	v_perm_b32 v4, v98, v11, s96
	v_accvgpr_write_b32 a0, v92
	v_accvgpr_write_b32 a1, v151
	;; [unrolled: 1-line block ×4, first 2 shown]
	v_perm_b32 v92, v141, v140, s96
	v_perm_b32 v94, v117, v115, s96
	v_mfma_f32_16x16x16_f16 a[0:3], v[4:5], v[2:3], a[0:3]
	s_barrier
	s_nop 6
	v_accvgpr_read_b32 v2, a0
	v_accvgpr_read_b32 v3, a1
	;; [unrolled: 1-line block ×4, first 2 shown]
	v_cvt_f16_f32_e32 v5, v2
	v_cvt_f16_f32_e32 v10, v3
	;; [unrolled: 1-line block ×4, first 2 shown]
	v_perm_b32 v5, v10, v5, s96
	v_perm_b32 v10, v147, v146, s96
	;; [unrolled: 1-line block ×4, first 2 shown]
	s_and_saveexec_b64 s[10:11], s[14:15]
	s_cbranch_execz .LBB0_221
; %bb.220:                              ;   in Loop: Header=BB0_12 Depth=1
	v_lshlrev_b32_e32 v5, 2, v32
	v_readfirstlane_b32 s14, v138
	v_readfirstlane_b32 s15, v139
	v_cvt_pk_f16_f32 v9, v18, v19
	v_max_f32_e32 v18, v6, v6
	v_cvt_pk_f16_f32 v10, v22, v23
	v_cvt_pk_f16_f32 v22, v27, v142
	;; [unrolled: 1-line block ×3, first 2 shown]
	global_load_dword v5, v5, s[14:15]
	v_cvt_pk_f16_f32 v11, v36, v113
	v_cvt_pk_f16_f32 v21, v111, v119
	;; [unrolled: 1-line block ×4, first 2 shown]
	s_waitcnt vmcnt(0)
	v_max_f32_e32 v19, v5, v5
	v_max_f32_e32 v18, v18, v19
	v_sub_f32_e32 v6, v6, v18
	v_sub_f32_e32 v5, v5, v18
	v_mul_f32_e32 v19, 0x3fb8aa3b, v6
	v_mul_f32_e32 v20, 0x3fb8aa3b, v5
	v_fma_f32 v23, v6, s47, -v19
	v_rndne_f32_e32 v24, v19
	v_fma_f32 v25, v5, s47, -v20
	v_rndne_f32_e32 v27, v20
	v_fmac_f32_e32 v23, 0x32a5705f, v6
	v_sub_f32_e32 v19, v19, v24
	v_fmac_f32_e32 v25, 0x32a5705f, v5
	v_sub_f32_e32 v20, v20, v27
	v_add_f32_e32 v19, v19, v23
	v_cvt_i32_f32_e32 v24, v24
	v_add_f32_e32 v20, v20, v25
	v_exp_f32_e32 v19, v19
	v_cvt_i32_f32_e32 v27, v27
	v_exp_f32_e32 v20, v20
	v_cmp_ngt_f32_e32 vcc, s69, v6
	v_ldexp_f32 v3, v19, v24
	v_ldexp_f32 v19, v20, v27
	v_cndmask_b32_e32 v3, 0, v3, vcc
	v_cmp_ngt_f32_e32 vcc, s69, v5
	s_nop 1
	v_cndmask_b32_e32 v19, 0, v19, vcc
	v_cmp_nlt_f32_e32 vcc, s94, v6
	s_nop 1
	v_cndmask_b32_e32 v3, v242, v3, vcc
	v_cmp_le_f32_e32 vcc, s95, v6
	s_nop 1
	v_cndmask_b32_e32 v3, 0, v3, vcc
	v_cvt_f16_f32_e32 v6, v3
	v_cmp_nlt_f32_e32 vcc, s94, v5
	s_nop 1
	v_cndmask_b32_e32 v19, v242, v19, vcc
	v_fmac_f32_e32 v19, v7, v3
	v_mul_u32_u24_e32 v3, 0x10001, v6
	v_pk_mul_f16 v20, v9, v3
	v_pk_mul_f16 v14, v14, v3
	;; [unrolled: 1-line block ×16, first 2 shown]
	v_mov_b64_e32 v[6:7], v[18:19]
.LBB0_221:                              ;   in Loop: Header=BB0_12 Depth=1
	s_or_b64 exec, exec, s[10:11]
	s_and_saveexec_b64 s[10:11], s[6:7]
; %bb.222:                              ;   in Loop: Header=BB0_12 Depth=1
	v_add_u32_e32 v2, 0, v178
	ds_write2_b32 v2, v6, v7 offset0:64 offset1:65
; %bb.223:                              ;   in Loop: Header=BB0_12 Depth=1
	s_or_b64 exec, exec, s[10:11]
	s_waitcnt lgkmcnt(0)
	s_barrier
	s_and_saveexec_b64 s[10:11], s[4:5]
	s_xor_b64 s[10:11], exec, s[10:11]
	s_cbranch_execz .LBB0_225
; %bb.224:                              ;   in Loop: Header=BB0_12 Depth=1
	s_barrier
                                        ; implicit-def: $vgpr8
.LBB0_225:                              ;   in Loop: Header=BB0_12 Depth=1
	s_andn2_saveexec_b64 s[10:11], s[10:11]
	s_cbranch_execz .LBB0_229
; %bb.226:                              ;   in Loop: Header=BB0_12 Depth=1
	v_add_u32_e32 v6, 0, v179
	ds_read_b64 v[2:3], v6 offset:256
	s_waitcnt lgkmcnt(0)
	s_barrier
	ds_bpermute_b32 v7, v8, v2
	v_max_f32_e32 v13, v2, v2
	s_waitcnt lgkmcnt(0)
	v_max_f32_e32 v7, v7, v7
	v_max_f32_e32 v7, v13, v7
	v_sub_f32_e32 v2, v2, v7
	v_mul_f32_e32 v7, 0x3fb8aa3b, v2
	v_fma_f32 v13, v2, s47, -v7
	v_rndne_f32_e32 v17, v7
	v_fmac_f32_e32 v13, 0x32a5705f, v2
	v_sub_f32_e32 v7, v7, v17
	v_add_f32_e32 v7, v7, v13
	v_cvt_i32_f32_e32 v17, v17
	v_exp_f32_e32 v7, v7
	v_cmp_ngt_f32_e32 vcc, s69, v2
	v_ldexp_f32 v7, v7, v17
	s_nop 0
	v_cndmask_b32_e32 v7, 0, v7, vcc
	v_cmp_nlt_f32_e32 vcc, s94, v2
	s_nop 1
	v_cndmask_b32_e32 v2, v242, v7, vcc
	v_mul_f32_e32 v3, v3, v2
	ds_bpermute_b32 v7, v8, v3
	s_and_saveexec_b64 s[14:15], s[8:9]
	s_cbranch_execz .LBB0_228
; %bb.227:                              ;   in Loop: Header=BB0_12 Depth=1
	s_waitcnt lgkmcnt(0)
	v_add_f32_e32 v3, v3, v7
	ds_write_b64 v6, v[2:3] offset:256
.LBB0_228:                              ;   in Loop: Header=BB0_12 Depth=1
	s_or_b64 exec, exec, s[14:15]
.LBB0_229:                              ;   in Loop: Header=BB0_12 Depth=1
	s_or_b64 exec, exec, s[10:11]
	v_add_u32_e32 v2, v105, v180
	ds_write2_b32 v2, v20, v14 offset1:1
	ds_write2_b32 v2, v24, v15 offset0:8 offset1:9
	ds_write2_b32 v2, v94, v28 offset0:16 offset1:17
	;; [unrolled: 1-line block ×7, first 2 shown]
	s_waitcnt lgkmcnt(0)
	s_barrier
	s_and_saveexec_b64 s[76:77], s[12:13]
	s_cbranch_execz .LBB0_10
; %bb.230:                              ;   in Loop: Header=BB0_12 Depth=1
	v_add_u32_e32 v2, v240, v109
	v_or_b32_e32 v3, v70, v107
	v_cmp_gt_i32_e32 vcc, s36, v2
	v_cmp_gt_i32_e64 s[10:11], s3, v3
	s_and_b64 s[78:79], vcc, s[10:11]
	v_mov_b32_e32 v3, 0x47
	s_and_saveexec_b64 s[14:15], s[78:79]
	s_cbranch_execz .LBB0_232
; %bb.231:                              ;   in Loop: Header=BB0_12 Depth=1
	v_add_u32_e32 v3, v89, v65
	ds_read2st64_b32 v[4:5], v3 offset1:17
	v_add_u32_e32 v3, 0, v65
	ds_read2_b32 v[6:7], v3 offset0:64 offset1:65
	ds_read_b32 v8, v3 offset:4608
	v_mad_u64_u32 v[2:3], s[78:79], v2, s37, v[70:71]
	s_waitcnt lgkmcnt(2)
	v_cvt_f32_f16_e32 v10, v4
	v_cvt_f32_f16_sdwa v11, v4 dst_sel:DWORD dst_unused:UNUSED_PAD src0_sel:WORD_1
	v_cvt_f32_f16_e32 v4, v5
	v_cvt_f32_f16_sdwa v5, v5 dst_sel:DWORD dst_unused:UNUSED_PAD src0_sel:WORD_1
	v_lshl_add_u32 v2, v2, 6, v30
	s_waitcnt lgkmcnt(1)
	v_pk_fma_f32 v[10:11], v[6:7], v[10:11], 0 op_sel_hi:[0,1,0]
	v_ashrrev_i32_e32 v3, 31, v2
	s_waitcnt lgkmcnt(0)
	v_pk_fma_f32 v[4:5], v[8:9], v[4:5], v[10:11] op_sel_hi:[0,1,1]
	v_div_scale_f32 v6, s[78:79], v7, v7, v5
	v_rcp_f32_e32 v8, v6
	v_lshl_add_u64 v[2:3], v[2:3], 3, v[136:137]
	v_fma_f32 v9, -v6, v8, 1.0
	v_fmac_f32_e32 v8, v9, v8
	v_div_scale_f32 v9, vcc, v5, v7, v5
	v_mul_f32_e32 v10, v9, v8
	v_fma_f32 v11, -v6, v10, v9
	v_fmac_f32_e32 v10, v11, v8
	v_fma_f32 v6, -v6, v10, v9
	v_div_scale_f32 v9, s[78:79], v7, v7, v4
	v_rcp_f32_e32 v11, v9
	v_div_fmas_f32 v6, v6, v8, v10
	v_div_fixup_f32 v5, v6, v7, v5
	v_fma_f32 v6, -v9, v11, 1.0
	v_fmac_f32_e32 v11, v6, v11
	v_div_scale_f32 v6, vcc, v4, v7, v4
	v_mul_f32_e32 v8, v6, v11
	v_fma_f32 v10, -v9, v8, v6
	v_fmac_f32_e32 v8, v10, v11
	v_fma_f32 v6, -v9, v8, v6
	v_div_fmas_f32 v6, v6, v11, v8
	v_div_fixup_f32 v4, v6, v7, v4
	global_store_dwordx2 v[2:3], v[4:5], off
	v_mov_b32_e32 v3, 0
.LBB0_232:                              ;   in Loop: Header=BB0_12 Depth=1
	s_or_b64 exec, exec, s[14:15]
	v_cmp_gt_i32_e32 vcc, s97, v3
	s_mov_b64 s[14:15], -1
	s_and_saveexec_b64 s[78:79], vcc
; %bb.233:                              ;   in Loop: Header=BB0_12 Depth=1
	v_cmp_eq_u32_e32 vcc, 0, v3
	s_orn2_b64 s[14:15], vcc, exec
; %bb.234:                              ;   in Loop: Header=BB0_12 Depth=1
	s_or_b64 exec, exec, s[78:79]
	s_and_b64 exec, exec, s[14:15]
	s_cbranch_execz .LBB0_10
; %bb.235:                              ;   in Loop: Header=BB0_12 Depth=1
	v_add_u32_e32 v2, v67, v109
	v_or_b32_e32 v3, v72, v107
	v_cmp_gt_i32_e32 vcc, s36, v2
	v_cmp_gt_i32_e64 s[14:15], s3, v3
	s_and_b64 s[78:79], vcc, s[14:15]
	v_mov_b32_e32 v3, 0x47
	s_and_saveexec_b64 s[14:15], s[78:79]
	s_cbranch_execz .LBB0_237
; %bb.236:                              ;   in Loop: Header=BB0_12 Depth=1
	v_add_u32_e32 v3, v89, v69
	ds_read2st64_b32 v[4:5], v3 offset1:17
	v_add_u32_e32 v3, 0, v69
	ds_read2_b32 v[6:7], v3 offset0:64 offset1:65
	ds_read_b32 v8, v3 offset:4608
	v_mad_u64_u32 v[2:3], s[78:79], v2, s37, v[72:73]
	s_waitcnt lgkmcnt(2)
	v_cvt_f32_f16_e32 v10, v4
	v_cvt_f32_f16_sdwa v11, v4 dst_sel:DWORD dst_unused:UNUSED_PAD src0_sel:WORD_1
	v_cvt_f32_f16_e32 v4, v5
	v_cvt_f32_f16_sdwa v5, v5 dst_sel:DWORD dst_unused:UNUSED_PAD src0_sel:WORD_1
	v_lshl_add_u32 v2, v2, 6, v30
	s_waitcnt lgkmcnt(1)
	v_pk_fma_f32 v[10:11], v[6:7], v[10:11], 0 op_sel_hi:[0,1,0]
	v_ashrrev_i32_e32 v3, 31, v2
	s_waitcnt lgkmcnt(0)
	v_pk_fma_f32 v[4:5], v[8:9], v[4:5], v[10:11] op_sel_hi:[0,1,1]
	v_div_scale_f32 v6, s[78:79], v7, v7, v5
	v_rcp_f32_e32 v8, v6
	v_lshl_add_u64 v[2:3], v[2:3], 3, v[136:137]
	v_fma_f32 v9, -v6, v8, 1.0
	v_fmac_f32_e32 v8, v9, v8
	v_div_scale_f32 v9, vcc, v5, v7, v5
	v_mul_f32_e32 v10, v9, v8
	v_fma_f32 v11, -v6, v10, v9
	v_fmac_f32_e32 v10, v11, v8
	v_fma_f32 v6, -v6, v10, v9
	v_div_scale_f32 v9, s[78:79], v7, v7, v4
	v_rcp_f32_e32 v11, v9
	v_div_fmas_f32 v6, v6, v8, v10
	v_div_fixup_f32 v5, v6, v7, v5
	v_fma_f32 v6, -v9, v11, 1.0
	v_fmac_f32_e32 v11, v6, v11
	v_div_scale_f32 v6, vcc, v4, v7, v4
	v_mul_f32_e32 v8, v6, v11
	v_fma_f32 v10, -v9, v8, v6
	v_fmac_f32_e32 v8, v10, v11
	v_fma_f32 v6, -v9, v8, v6
	v_div_fmas_f32 v6, v6, v11, v8
	v_div_fixup_f32 v4, v6, v7, v4
	global_store_dwordx2 v[2:3], v[4:5], off
	v_mov_b32_e32 v3, 0
.LBB0_237:                              ;   in Loop: Header=BB0_12 Depth=1
	s_or_b64 exec, exec, s[14:15]
	v_cmp_gt_i32_e32 vcc, s97, v3
	s_mov_b64 s[14:15], -1
	s_and_saveexec_b64 s[78:79], vcc
; %bb.238:                              ;   in Loop: Header=BB0_12 Depth=1
	v_cmp_eq_u32_e32 vcc, 0, v3
	s_orn2_b64 s[14:15], vcc, exec
; %bb.239:                              ;   in Loop: Header=BB0_12 Depth=1
	s_or_b64 exec, exec, s[78:79]
	s_and_b64 exec, exec, s[14:15]
	s_cbranch_execz .LBB0_10
; %bb.240:                              ;   in Loop: Header=BB0_12 Depth=1
	v_add_u32_e32 v2, v191, v109
	v_or_b32_e32 v3, v74, v107
	v_cmp_gt_i32_e32 vcc, s36, v2
	v_cmp_gt_i32_e64 s[14:15], s3, v3
	s_and_b64 s[78:79], vcc, s[14:15]
	v_mov_b32_e32 v3, 0x47
	s_and_saveexec_b64 s[14:15], s[78:79]
	s_cbranch_execz .LBB0_242
; %bb.241:                              ;   in Loop: Header=BB0_12 Depth=1
	v_add_u32_e32 v3, v89, v192
	ds_read2st64_b32 v[4:5], v3 offset1:17
	v_add_u32_e32 v3, 0, v192
	ds_read2_b32 v[6:7], v3 offset0:64 offset1:65
	ds_read_b32 v8, v3 offset:4608
	v_mad_u64_u32 v[2:3], s[78:79], v2, s37, v[74:75]
	s_waitcnt lgkmcnt(2)
	v_cvt_f32_f16_e32 v10, v4
	v_cvt_f32_f16_sdwa v11, v4 dst_sel:DWORD dst_unused:UNUSED_PAD src0_sel:WORD_1
	v_cvt_f32_f16_e32 v4, v5
	v_cvt_f32_f16_sdwa v5, v5 dst_sel:DWORD dst_unused:UNUSED_PAD src0_sel:WORD_1
	v_lshl_add_u32 v2, v2, 6, v30
	s_waitcnt lgkmcnt(1)
	v_pk_fma_f32 v[10:11], v[6:7], v[10:11], 0 op_sel_hi:[0,1,0]
	v_ashrrev_i32_e32 v3, 31, v2
	s_waitcnt lgkmcnt(0)
	v_pk_fma_f32 v[4:5], v[8:9], v[4:5], v[10:11] op_sel_hi:[0,1,1]
	v_div_scale_f32 v6, s[78:79], v7, v7, v5
	v_rcp_f32_e32 v8, v6
	v_lshl_add_u64 v[2:3], v[2:3], 3, v[136:137]
	v_fma_f32 v9, -v6, v8, 1.0
	v_fmac_f32_e32 v8, v9, v8
	v_div_scale_f32 v9, vcc, v5, v7, v5
	v_mul_f32_e32 v10, v9, v8
	v_fma_f32 v11, -v6, v10, v9
	v_fmac_f32_e32 v10, v11, v8
	v_fma_f32 v6, -v6, v10, v9
	v_div_scale_f32 v9, s[78:79], v7, v7, v4
	v_rcp_f32_e32 v11, v9
	v_div_fmas_f32 v6, v6, v8, v10
	v_div_fixup_f32 v5, v6, v7, v5
	v_fma_f32 v6, -v9, v11, 1.0
	v_fmac_f32_e32 v11, v6, v11
	v_div_scale_f32 v6, vcc, v4, v7, v4
	v_mul_f32_e32 v8, v6, v11
	v_fma_f32 v10, -v9, v8, v6
	v_fmac_f32_e32 v8, v10, v11
	v_fma_f32 v6, -v9, v8, v6
	v_div_fmas_f32 v6, v6, v11, v8
	v_div_fixup_f32 v4, v6, v7, v4
	global_store_dwordx2 v[2:3], v[4:5], off
	v_mov_b32_e32 v3, 0
.LBB0_242:                              ;   in Loop: Header=BB0_12 Depth=1
	s_or_b64 exec, exec, s[14:15]
	v_cmp_gt_i32_e32 vcc, s97, v3
	s_mov_b64 s[14:15], -1
	s_and_saveexec_b64 s[78:79], vcc
; %bb.243:                              ;   in Loop: Header=BB0_12 Depth=1
	v_cmp_eq_u32_e32 vcc, 0, v3
	s_orn2_b64 s[14:15], vcc, exec
; %bb.244:                              ;   in Loop: Header=BB0_12 Depth=1
	s_or_b64 exec, exec, s[78:79]
	s_and_b64 exec, exec, s[14:15]
	s_cbranch_execz .LBB0_10
; %bb.245:                              ;   in Loop: Header=BB0_12 Depth=1
	v_add_u32_e32 v2, v193, v109
	v_or_b32_e32 v3, v76, v107
	v_cmp_gt_i32_e32 vcc, s36, v2
	v_cmp_gt_i32_e64 s[14:15], s3, v3
	s_and_b64 s[78:79], vcc, s[14:15]
	v_mov_b32_e32 v3, 0x47
	s_and_saveexec_b64 s[14:15], s[78:79]
	s_cbranch_execz .LBB0_247
; %bb.246:                              ;   in Loop: Header=BB0_12 Depth=1
	v_add_u32_e32 v3, v89, v194
	ds_read2st64_b32 v[4:5], v3 offset1:17
	v_add_u32_e32 v3, 0, v194
	ds_read2_b32 v[6:7], v3 offset0:64 offset1:65
	ds_read_b32 v8, v3 offset:4608
	v_mad_u64_u32 v[2:3], s[78:79], v2, s37, v[76:77]
	s_waitcnt lgkmcnt(2)
	v_cvt_f32_f16_e32 v10, v4
	v_cvt_f32_f16_sdwa v11, v4 dst_sel:DWORD dst_unused:UNUSED_PAD src0_sel:WORD_1
	v_cvt_f32_f16_e32 v4, v5
	v_cvt_f32_f16_sdwa v5, v5 dst_sel:DWORD dst_unused:UNUSED_PAD src0_sel:WORD_1
	v_lshl_add_u32 v2, v2, 6, v30
	s_waitcnt lgkmcnt(1)
	v_pk_fma_f32 v[10:11], v[6:7], v[10:11], 0 op_sel_hi:[0,1,0]
	v_ashrrev_i32_e32 v3, 31, v2
	s_waitcnt lgkmcnt(0)
	v_pk_fma_f32 v[4:5], v[8:9], v[4:5], v[10:11] op_sel_hi:[0,1,1]
	v_div_scale_f32 v6, s[78:79], v7, v7, v5
	v_rcp_f32_e32 v8, v6
	v_lshl_add_u64 v[2:3], v[2:3], 3, v[136:137]
	v_fma_f32 v9, -v6, v8, 1.0
	v_fmac_f32_e32 v8, v9, v8
	v_div_scale_f32 v9, vcc, v5, v7, v5
	v_mul_f32_e32 v10, v9, v8
	v_fma_f32 v11, -v6, v10, v9
	v_fmac_f32_e32 v10, v11, v8
	v_fma_f32 v6, -v6, v10, v9
	v_div_scale_f32 v9, s[78:79], v7, v7, v4
	v_rcp_f32_e32 v11, v9
	v_div_fmas_f32 v6, v6, v8, v10
	v_div_fixup_f32 v5, v6, v7, v5
	v_fma_f32 v6, -v9, v11, 1.0
	v_fmac_f32_e32 v11, v6, v11
	v_div_scale_f32 v6, vcc, v4, v7, v4
	v_mul_f32_e32 v8, v6, v11
	v_fma_f32 v10, -v9, v8, v6
	v_fmac_f32_e32 v8, v10, v11
	v_fma_f32 v6, -v9, v8, v6
	v_div_fmas_f32 v6, v6, v11, v8
	v_div_fixup_f32 v4, v6, v7, v4
	global_store_dwordx2 v[2:3], v[4:5], off
	v_mov_b32_e32 v3, 0
.LBB0_247:                              ;   in Loop: Header=BB0_12 Depth=1
	s_or_b64 exec, exec, s[14:15]
	v_cmp_gt_i32_e32 vcc, s97, v3
	s_mov_b64 s[14:15], -1
	s_and_saveexec_b64 s[78:79], vcc
; %bb.248:                              ;   in Loop: Header=BB0_12 Depth=1
	v_cmp_eq_u32_e32 vcc, 0, v3
	s_orn2_b64 s[14:15], vcc, exec
; %bb.249:                              ;   in Loop: Header=BB0_12 Depth=1
	s_or_b64 exec, exec, s[78:79]
	s_and_b64 exec, exec, s[14:15]
	s_cbranch_execz .LBB0_10
; %bb.250:                              ;   in Loop: Header=BB0_12 Depth=1
	v_add_u32_e32 v2, v195, v109
	v_or_b32_e32 v3, v78, v107
	v_cmp_gt_i32_e32 vcc, s36, v2
	v_cmp_gt_i32_e64 s[14:15], s3, v3
	s_and_b64 s[78:79], vcc, s[14:15]
	v_mov_b32_e32 v3, 0x47
	s_and_saveexec_b64 s[14:15], s[78:79]
	s_cbranch_execz .LBB0_252
; %bb.251:                              ;   in Loop: Header=BB0_12 Depth=1
	v_add_u32_e32 v3, v89, v196
	ds_read2st64_b32 v[4:5], v3 offset1:17
	v_add_u32_e32 v3, 0, v196
	ds_read2_b32 v[6:7], v3 offset0:64 offset1:65
	ds_read_b32 v8, v3 offset:4608
	v_mad_u64_u32 v[2:3], s[78:79], v2, s37, v[78:79]
	s_waitcnt lgkmcnt(2)
	v_cvt_f32_f16_e32 v10, v4
	v_cvt_f32_f16_sdwa v11, v4 dst_sel:DWORD dst_unused:UNUSED_PAD src0_sel:WORD_1
	v_cvt_f32_f16_e32 v4, v5
	v_cvt_f32_f16_sdwa v5, v5 dst_sel:DWORD dst_unused:UNUSED_PAD src0_sel:WORD_1
	v_lshl_add_u32 v2, v2, 6, v30
	s_waitcnt lgkmcnt(1)
	v_pk_fma_f32 v[10:11], v[6:7], v[10:11], 0 op_sel_hi:[0,1,0]
	v_ashrrev_i32_e32 v3, 31, v2
	s_waitcnt lgkmcnt(0)
	v_pk_fma_f32 v[4:5], v[8:9], v[4:5], v[10:11] op_sel_hi:[0,1,1]
	v_div_scale_f32 v6, s[78:79], v7, v7, v5
	v_rcp_f32_e32 v8, v6
	v_lshl_add_u64 v[2:3], v[2:3], 3, v[136:137]
	v_fma_f32 v9, -v6, v8, 1.0
	v_fmac_f32_e32 v8, v9, v8
	v_div_scale_f32 v9, vcc, v5, v7, v5
	v_mul_f32_e32 v10, v9, v8
	v_fma_f32 v11, -v6, v10, v9
	v_fmac_f32_e32 v10, v11, v8
	v_fma_f32 v6, -v6, v10, v9
	v_div_scale_f32 v9, s[78:79], v7, v7, v4
	v_rcp_f32_e32 v11, v9
	v_div_fmas_f32 v6, v6, v8, v10
	v_div_fixup_f32 v5, v6, v7, v5
	v_fma_f32 v6, -v9, v11, 1.0
	v_fmac_f32_e32 v11, v6, v11
	v_div_scale_f32 v6, vcc, v4, v7, v4
	v_mul_f32_e32 v8, v6, v11
	v_fma_f32 v10, -v9, v8, v6
	v_fmac_f32_e32 v8, v10, v11
	v_fma_f32 v6, -v9, v8, v6
	v_div_fmas_f32 v6, v6, v11, v8
	v_div_fixup_f32 v4, v6, v7, v4
	global_store_dwordx2 v[2:3], v[4:5], off
	v_mov_b32_e32 v3, 0
.LBB0_252:                              ;   in Loop: Header=BB0_12 Depth=1
	s_or_b64 exec, exec, s[14:15]
	v_cmp_gt_i32_e32 vcc, s97, v3
	s_mov_b64 s[14:15], -1
	s_and_saveexec_b64 s[78:79], vcc
; %bb.253:                              ;   in Loop: Header=BB0_12 Depth=1
	v_cmp_eq_u32_e32 vcc, 0, v3
	s_orn2_b64 s[14:15], vcc, exec
; %bb.254:                              ;   in Loop: Header=BB0_12 Depth=1
	s_or_b64 exec, exec, s[78:79]
	s_and_b64 exec, exec, s[14:15]
	s_cbranch_execz .LBB0_10
; %bb.255:                              ;   in Loop: Header=BB0_12 Depth=1
	v_add_u32_e32 v2, v197, v109
	v_or_b32_e32 v3, v80, v107
	v_cmp_gt_i32_e32 vcc, s36, v2
	v_cmp_gt_i32_e64 s[14:15], s3, v3
	s_and_b64 s[78:79], vcc, s[14:15]
	v_mov_b32_e32 v3, 0x47
	s_and_saveexec_b64 s[14:15], s[78:79]
	s_cbranch_execz .LBB0_257
; %bb.256:                              ;   in Loop: Header=BB0_12 Depth=1
	v_accvgpr_read_b32 v6, a9
	v_add_u32_e32 v3, v89, v6
	ds_read2st64_b32 v[4:5], v3 offset1:17
	v_add_u32_e32 v3, 0, v6
	ds_read2_b32 v[6:7], v3 offset0:64 offset1:65
	ds_read_b32 v8, v3 offset:4608
	v_mad_u64_u32 v[2:3], s[78:79], v2, s37, v[80:81]
	s_waitcnt lgkmcnt(2)
	v_cvt_f32_f16_e32 v10, v4
	v_cvt_f32_f16_sdwa v11, v4 dst_sel:DWORD dst_unused:UNUSED_PAD src0_sel:WORD_1
	v_cvt_f32_f16_e32 v4, v5
	v_cvt_f32_f16_sdwa v5, v5 dst_sel:DWORD dst_unused:UNUSED_PAD src0_sel:WORD_1
	v_lshl_add_u32 v2, v2, 6, v30
	s_waitcnt lgkmcnt(1)
	v_pk_fma_f32 v[10:11], v[6:7], v[10:11], 0 op_sel_hi:[0,1,0]
	v_ashrrev_i32_e32 v3, 31, v2
	s_waitcnt lgkmcnt(0)
	v_pk_fma_f32 v[4:5], v[8:9], v[4:5], v[10:11] op_sel_hi:[0,1,1]
	v_div_scale_f32 v6, s[78:79], v7, v7, v5
	v_rcp_f32_e32 v8, v6
	v_lshl_add_u64 v[2:3], v[2:3], 3, v[136:137]
	v_fma_f32 v9, -v6, v8, 1.0
	v_fmac_f32_e32 v8, v9, v8
	v_div_scale_f32 v9, vcc, v5, v7, v5
	v_mul_f32_e32 v10, v9, v8
	v_fma_f32 v11, -v6, v10, v9
	v_fmac_f32_e32 v10, v11, v8
	v_fma_f32 v6, -v6, v10, v9
	v_div_scale_f32 v9, s[78:79], v7, v7, v4
	v_rcp_f32_e32 v11, v9
	v_div_fmas_f32 v6, v6, v8, v10
	v_div_fixup_f32 v5, v6, v7, v5
	v_fma_f32 v6, -v9, v11, 1.0
	v_fmac_f32_e32 v11, v6, v11
	v_div_scale_f32 v6, vcc, v4, v7, v4
	v_mul_f32_e32 v8, v6, v11
	v_fma_f32 v10, -v9, v8, v6
	v_fmac_f32_e32 v8, v10, v11
	v_fma_f32 v6, -v9, v8, v6
	v_div_fmas_f32 v6, v6, v11, v8
	v_div_fixup_f32 v4, v6, v7, v4
	global_store_dwordx2 v[2:3], v[4:5], off
	v_mov_b32_e32 v3, 0
.LBB0_257:                              ;   in Loop: Header=BB0_12 Depth=1
	s_or_b64 exec, exec, s[14:15]
	v_cmp_gt_i32_e32 vcc, s97, v3
	s_mov_b64 s[14:15], -1
	s_and_saveexec_b64 s[78:79], vcc
; %bb.258:                              ;   in Loop: Header=BB0_12 Depth=1
	v_cmp_eq_u32_e32 vcc, 0, v3
	s_orn2_b64 s[14:15], vcc, exec
; %bb.259:                              ;   in Loop: Header=BB0_12 Depth=1
	s_or_b64 exec, exec, s[78:79]
	s_and_b64 exec, exec, s[14:15]
	s_cbranch_execz .LBB0_10
; %bb.260:                              ;   in Loop: Header=BB0_12 Depth=1
	v_add_u32_e32 v2, v88, v109
	v_or_b32_e32 v3, v82, v107
	v_cmp_gt_i32_e32 vcc, s36, v2
	v_cmp_gt_i32_e64 s[14:15], s3, v3
	s_and_b64 s[78:79], vcc, s[14:15]
	v_mov_b32_e32 v3, 0x47
	s_and_saveexec_b64 s[14:15], s[78:79]
	s_cbranch_execz .LBB0_262
; %bb.261:                              ;   in Loop: Header=BB0_12 Depth=1
	v_accvgpr_read_b32 v6, a10
	v_add_u32_e32 v3, v89, v6
	ds_read2st64_b32 v[4:5], v3 offset1:17
	v_add_u32_e32 v3, 0, v6
	ds_read2_b32 v[6:7], v3 offset0:64 offset1:65
	ds_read_b32 v8, v3 offset:4608
	v_mad_u64_u32 v[2:3], s[78:79], v2, s37, v[82:83]
	s_waitcnt lgkmcnt(2)
	v_cvt_f32_f16_e32 v10, v4
	v_cvt_f32_f16_sdwa v11, v4 dst_sel:DWORD dst_unused:UNUSED_PAD src0_sel:WORD_1
	v_cvt_f32_f16_e32 v4, v5
	v_cvt_f32_f16_sdwa v5, v5 dst_sel:DWORD dst_unused:UNUSED_PAD src0_sel:WORD_1
	v_lshl_add_u32 v2, v2, 6, v30
	s_waitcnt lgkmcnt(1)
	v_pk_fma_f32 v[10:11], v[6:7], v[10:11], 0 op_sel_hi:[0,1,0]
	v_ashrrev_i32_e32 v3, 31, v2
	s_waitcnt lgkmcnt(0)
	v_pk_fma_f32 v[4:5], v[8:9], v[4:5], v[10:11] op_sel_hi:[0,1,1]
	v_div_scale_f32 v6, s[78:79], v7, v7, v5
	v_rcp_f32_e32 v8, v6
	v_lshl_add_u64 v[2:3], v[2:3], 3, v[136:137]
	v_fma_f32 v9, -v6, v8, 1.0
	v_fmac_f32_e32 v8, v9, v8
	v_div_scale_f32 v9, vcc, v5, v7, v5
	v_mul_f32_e32 v10, v9, v8
	v_fma_f32 v11, -v6, v10, v9
	v_fmac_f32_e32 v10, v11, v8
	v_fma_f32 v6, -v6, v10, v9
	v_div_scale_f32 v9, s[78:79], v7, v7, v4
	v_rcp_f32_e32 v11, v9
	v_div_fmas_f32 v6, v6, v8, v10
	v_div_fixup_f32 v5, v6, v7, v5
	v_fma_f32 v6, -v9, v11, 1.0
	v_fmac_f32_e32 v11, v6, v11
	v_div_scale_f32 v6, vcc, v4, v7, v4
	v_mul_f32_e32 v8, v6, v11
	v_fma_f32 v10, -v9, v8, v6
	v_fmac_f32_e32 v8, v10, v11
	v_fma_f32 v6, -v9, v8, v6
	v_div_fmas_f32 v6, v6, v11, v8
	v_div_fixup_f32 v4, v6, v7, v4
	global_store_dwordx2 v[2:3], v[4:5], off
	v_mov_b32_e32 v3, 0
.LBB0_262:                              ;   in Loop: Header=BB0_12 Depth=1
	s_or_b64 exec, exec, s[14:15]
	v_cmp_gt_i32_e32 vcc, s97, v3
	s_mov_b64 s[14:15], -1
	s_and_saveexec_b64 s[78:79], vcc
; %bb.263:                              ;   in Loop: Header=BB0_12 Depth=1
	v_cmp_eq_u32_e32 vcc, 0, v3
	s_orn2_b64 s[14:15], vcc, exec
; %bb.264:                              ;   in Loop: Header=BB0_12 Depth=1
	s_or_b64 exec, exec, s[78:79]
	s_and_b64 exec, exec, s[14:15]
	s_cbranch_execz .LBB0_10
; %bb.265:                              ;   in Loop: Header=BB0_12 Depth=1
	v_add_u32_e32 v2, v207, v109
	v_or_b32_e32 v3, v84, v107
	v_cmp_gt_i32_e32 vcc, s36, v2
	v_cmp_gt_i32_e64 s[14:15], s3, v3
	s_and_b64 s[78:79], vcc, s[14:15]
	v_mov_b32_e32 v3, 0x47
	s_and_saveexec_b64 s[14:15], s[78:79]
	s_cbranch_execz .LBB0_267
; %bb.266:                              ;   in Loop: Header=BB0_12 Depth=1
	v_accvgpr_read_b32 v6, a11
	v_add_u32_e32 v3, v89, v6
	ds_read2st64_b32 v[4:5], v3 offset1:17
	v_add_u32_e32 v3, 0, v6
	ds_read2_b32 v[6:7], v3 offset0:64 offset1:65
	ds_read_b32 v8, v3 offset:4608
	v_mad_u64_u32 v[2:3], s[78:79], v2, s37, v[84:85]
	s_waitcnt lgkmcnt(2)
	v_cvt_f32_f16_e32 v10, v4
	v_cvt_f32_f16_sdwa v11, v4 dst_sel:DWORD dst_unused:UNUSED_PAD src0_sel:WORD_1
	v_cvt_f32_f16_e32 v4, v5
	v_cvt_f32_f16_sdwa v5, v5 dst_sel:DWORD dst_unused:UNUSED_PAD src0_sel:WORD_1
	v_lshl_add_u32 v2, v2, 6, v30
	s_waitcnt lgkmcnt(1)
	v_pk_fma_f32 v[10:11], v[6:7], v[10:11], 0 op_sel_hi:[0,1,0]
	v_ashrrev_i32_e32 v3, 31, v2
	s_waitcnt lgkmcnt(0)
	v_pk_fma_f32 v[4:5], v[8:9], v[4:5], v[10:11] op_sel_hi:[0,1,1]
	v_div_scale_f32 v6, s[78:79], v7, v7, v5
	v_rcp_f32_e32 v8, v6
	v_lshl_add_u64 v[2:3], v[2:3], 3, v[136:137]
	v_fma_f32 v9, -v6, v8, 1.0
	v_fmac_f32_e32 v8, v9, v8
	v_div_scale_f32 v9, vcc, v5, v7, v5
	v_mul_f32_e32 v10, v9, v8
	v_fma_f32 v11, -v6, v10, v9
	v_fmac_f32_e32 v10, v11, v8
	v_fma_f32 v6, -v6, v10, v9
	v_div_scale_f32 v9, s[78:79], v7, v7, v4
	v_rcp_f32_e32 v11, v9
	v_div_fmas_f32 v6, v6, v8, v10
	v_div_fixup_f32 v5, v6, v7, v5
	v_fma_f32 v6, -v9, v11, 1.0
	v_fmac_f32_e32 v11, v6, v11
	v_div_scale_f32 v6, vcc, v4, v7, v4
	v_mul_f32_e32 v8, v6, v11
	v_fma_f32 v10, -v9, v8, v6
	v_fmac_f32_e32 v8, v10, v11
	v_fma_f32 v6, -v9, v8, v6
	v_div_fmas_f32 v6, v6, v11, v8
	v_div_fixup_f32 v4, v6, v7, v4
	global_store_dwordx2 v[2:3], v[4:5], off
	v_mov_b32_e32 v3, 0
.LBB0_267:                              ;   in Loop: Header=BB0_12 Depth=1
	s_or_b64 exec, exec, s[14:15]
	v_cmp_gt_i32_e32 vcc, s97, v3
	s_mov_b64 s[14:15], -1
	s_and_saveexec_b64 s[78:79], vcc
; %bb.268:                              ;   in Loop: Header=BB0_12 Depth=1
	v_cmp_eq_u32_e32 vcc, 0, v3
	s_orn2_b64 s[14:15], vcc, exec
; %bb.269:                              ;   in Loop: Header=BB0_12 Depth=1
	s_or_b64 exec, exec, s[78:79]
	s_and_b64 exec, exec, s[14:15]
	s_cbranch_execz .LBB0_10
; %bb.270:                              ;   in Loop: Header=BB0_12 Depth=1
	v_add_u32_e32 v2, v90, v109
	v_cmp_gt_i32_e32 vcc, s36, v2
	s_and_b64 s[14:15], vcc, s[10:11]
	v_mov_b32_e32 v3, 0x47
	s_and_saveexec_b64 s[10:11], s[14:15]
	s_cbranch_execz .LBB0_272
; %bb.271:                              ;   in Loop: Header=BB0_12 Depth=1
	v_accvgpr_read_b32 v6, a12
	v_add_u32_e32 v3, v89, v6
	ds_read2st64_b32 v[4:5], v3 offset1:17
	v_add_u32_e32 v3, 0, v6
	ds_read2_b32 v[6:7], v3 offset0:64 offset1:65
	ds_read_b32 v8, v3 offset:4608
	v_mad_u64_u32 v[2:3], s[14:15], v2, s37, v[70:71]
	s_waitcnt lgkmcnt(2)
	v_cvt_f32_f16_e32 v10, v4
	v_cvt_f32_f16_sdwa v11, v4 dst_sel:DWORD dst_unused:UNUSED_PAD src0_sel:WORD_1
	v_cvt_f32_f16_e32 v4, v5
	v_cvt_f32_f16_sdwa v5, v5 dst_sel:DWORD dst_unused:UNUSED_PAD src0_sel:WORD_1
	v_lshl_add_u32 v2, v2, 6, v30
	s_waitcnt lgkmcnt(1)
	v_pk_fma_f32 v[10:11], v[6:7], v[10:11], 0 op_sel_hi:[0,1,0]
	v_ashrrev_i32_e32 v3, 31, v2
	s_waitcnt lgkmcnt(0)
	v_pk_fma_f32 v[4:5], v[8:9], v[4:5], v[10:11] op_sel_hi:[0,1,1]
	v_div_scale_f32 v6, s[14:15], v7, v7, v5
	v_rcp_f32_e32 v8, v6
	v_lshl_add_u64 v[2:3], v[2:3], 3, v[136:137]
	v_fma_f32 v9, -v6, v8, 1.0
	v_fmac_f32_e32 v8, v9, v8
	v_div_scale_f32 v9, vcc, v5, v7, v5
	v_mul_f32_e32 v10, v9, v8
	v_fma_f32 v11, -v6, v10, v9
	v_fmac_f32_e32 v10, v11, v8
	v_fma_f32 v6, -v6, v10, v9
	v_div_scale_f32 v9, s[14:15], v7, v7, v4
	v_rcp_f32_e32 v11, v9
	v_div_fmas_f32 v6, v6, v8, v10
	v_div_fixup_f32 v5, v6, v7, v5
	v_fma_f32 v6, -v9, v11, 1.0
	v_fmac_f32_e32 v11, v6, v11
	v_div_scale_f32 v6, vcc, v4, v7, v4
	v_mul_f32_e32 v8, v6, v11
	v_fma_f32 v10, -v9, v8, v6
	v_fmac_f32_e32 v8, v10, v11
	v_fma_f32 v6, -v9, v8, v6
	v_div_fmas_f32 v6, v6, v11, v8
	v_div_fixup_f32 v4, v6, v7, v4
	global_store_dwordx2 v[2:3], v[4:5], off
	v_mov_b32_e32 v3, 0
.LBB0_272:                              ;   in Loop: Header=BB0_12 Depth=1
	s_or_b64 exec, exec, s[10:11]
	v_cmp_gt_i32_e32 vcc, s97, v3
	s_mov_b64 s[10:11], -1
	s_and_saveexec_b64 s[14:15], vcc
; %bb.273:                              ;   in Loop: Header=BB0_12 Depth=1
	v_cmp_eq_u32_e32 vcc, 0, v3
	s_orn2_b64 s[10:11], vcc, exec
; %bb.274:                              ;   in Loop: Header=BB0_12 Depth=1
	s_or_b64 exec, exec, s[14:15]
	s_and_b64 exec, exec, s[10:11]
	s_cbranch_execz .LBB0_10
; %bb.275:                              ;   in Loop: Header=BB0_12 Depth=1
	v_add_u32_e32 v2, v205, v109
	v_or_b32_e32 v3, v86, v107
	v_cmp_gt_i32_e32 vcc, s36, v2
	v_cmp_gt_i32_e64 s[10:11], s3, v3
	s_and_b64 s[14:15], vcc, s[10:11]
	v_mov_b32_e32 v3, 0x47
	s_and_saveexec_b64 s[10:11], s[14:15]
	s_cbranch_execz .LBB0_277
; %bb.276:                              ;   in Loop: Header=BB0_12 Depth=1
	v_accvgpr_read_b32 v6, a13
	v_add_u32_e32 v3, v89, v6
	ds_read2st64_b32 v[4:5], v3 offset1:17
	v_add_u32_e32 v3, 0, v6
	ds_read2_b32 v[6:7], v3 offset0:64 offset1:65
	ds_read_b32 v8, v3 offset:4608
	v_mad_u64_u32 v[2:3], s[14:15], v2, s37, v[86:87]
	s_waitcnt lgkmcnt(2)
	v_cvt_f32_f16_e32 v10, v4
	v_cvt_f32_f16_sdwa v11, v4 dst_sel:DWORD dst_unused:UNUSED_PAD src0_sel:WORD_1
	v_cvt_f32_f16_e32 v4, v5
	v_cvt_f32_f16_sdwa v5, v5 dst_sel:DWORD dst_unused:UNUSED_PAD src0_sel:WORD_1
	v_lshl_add_u32 v2, v2, 6, v30
	s_waitcnt lgkmcnt(1)
	v_pk_fma_f32 v[10:11], v[6:7], v[10:11], 0 op_sel_hi:[0,1,0]
	v_ashrrev_i32_e32 v3, 31, v2
	s_waitcnt lgkmcnt(0)
	v_pk_fma_f32 v[4:5], v[8:9], v[4:5], v[10:11] op_sel_hi:[0,1,1]
	v_div_scale_f32 v6, s[14:15], v7, v7, v5
	v_rcp_f32_e32 v8, v6
	v_lshl_add_u64 v[2:3], v[2:3], 3, v[136:137]
	v_fma_f32 v9, -v6, v8, 1.0
	v_fmac_f32_e32 v8, v9, v8
	v_div_scale_f32 v9, vcc, v5, v7, v5
	v_mul_f32_e32 v10, v9, v8
	v_fma_f32 v11, -v6, v10, v9
	v_fmac_f32_e32 v10, v11, v8
	v_fma_f32 v6, -v6, v10, v9
	v_div_scale_f32 v9, s[14:15], v7, v7, v4
	v_rcp_f32_e32 v11, v9
	v_div_fmas_f32 v6, v6, v8, v10
	v_div_fixup_f32 v5, v6, v7, v5
	v_fma_f32 v6, -v9, v11, 1.0
	v_fmac_f32_e32 v11, v6, v11
	v_div_scale_f32 v6, vcc, v4, v7, v4
	v_mul_f32_e32 v8, v6, v11
	v_fma_f32 v10, -v9, v8, v6
	v_fmac_f32_e32 v8, v10, v11
	v_fma_f32 v6, -v9, v8, v6
	v_div_fmas_f32 v6, v6, v11, v8
	v_div_fixup_f32 v4, v6, v7, v4
	global_store_dwordx2 v[2:3], v[4:5], off
	v_mov_b32_e32 v3, 0
.LBB0_277:                              ;   in Loop: Header=BB0_12 Depth=1
	s_or_b64 exec, exec, s[10:11]
	v_cmp_gt_i32_e32 vcc, s97, v3
	s_mov_b64 s[10:11], -1
	s_and_saveexec_b64 s[14:15], vcc
; %bb.278:                              ;   in Loop: Header=BB0_12 Depth=1
	v_cmp_eq_u32_e32 vcc, 0, v3
	s_orn2_b64 s[10:11], vcc, exec
; %bb.279:                              ;   in Loop: Header=BB0_12 Depth=1
	s_or_b64 exec, exec, s[14:15]
	s_and_b64 exec, exec, s[10:11]
	s_cbranch_execz .LBB0_10
; %bb.280:                              ;   in Loop: Header=BB0_12 Depth=1
	v_accvgpr_read_b32 v2, a14
	v_accvgpr_read_b32 v4, a16
	v_add_u32_e32 v2, v2, v109
	v_or_b32_e32 v3, v4, v107
	v_cmp_gt_i32_e32 vcc, s36, v2
	v_cmp_gt_i32_e64 s[10:11], s3, v3
	s_and_b64 s[14:15], vcc, s[10:11]
	v_mov_b32_e32 v3, 0x47
	s_and_saveexec_b64 s[10:11], s[14:15]
	s_cbranch_execz .LBB0_282
; %bb.281:                              ;   in Loop: Header=BB0_12 Depth=1
	v_accvgpr_read_b32 v6, a15
	v_add_u32_e32 v3, v89, v6
	ds_read2st64_b32 v[4:5], v3 offset1:17
	v_add_u32_e32 v3, 0, v6
	ds_read2_b32 v[6:7], v3 offset0:64 offset1:65
	ds_read_b32 v8, v3 offset:4608
	v_accvgpr_read_b32 v12, a16
	v_mad_u64_u32 v[2:3], s[14:15], v2, s37, v[12:13]
	s_waitcnt lgkmcnt(2)
	v_cvt_f32_f16_e32 v10, v4
	v_cvt_f32_f16_sdwa v11, v4 dst_sel:DWORD dst_unused:UNUSED_PAD src0_sel:WORD_1
	v_cvt_f32_f16_e32 v4, v5
	v_cvt_f32_f16_sdwa v5, v5 dst_sel:DWORD dst_unused:UNUSED_PAD src0_sel:WORD_1
	v_lshl_add_u32 v2, v2, 6, v30
	s_waitcnt lgkmcnt(1)
	v_pk_fma_f32 v[10:11], v[6:7], v[10:11], 0 op_sel_hi:[0,1,0]
	v_ashrrev_i32_e32 v3, 31, v2
	s_waitcnt lgkmcnt(0)
	v_pk_fma_f32 v[4:5], v[8:9], v[4:5], v[10:11] op_sel_hi:[0,1,1]
	v_div_scale_f32 v6, s[14:15], v7, v7, v5
	v_rcp_f32_e32 v8, v6
	v_lshl_add_u64 v[2:3], v[2:3], 3, v[136:137]
	v_fma_f32 v9, -v6, v8, 1.0
	v_fmac_f32_e32 v8, v9, v8
	v_div_scale_f32 v9, vcc, v5, v7, v5
	v_mul_f32_e32 v10, v9, v8
	v_fma_f32 v11, -v6, v10, v9
	v_fmac_f32_e32 v10, v11, v8
	v_fma_f32 v6, -v6, v10, v9
	v_div_scale_f32 v9, s[14:15], v7, v7, v4
	v_rcp_f32_e32 v11, v9
	v_div_fmas_f32 v6, v6, v8, v10
	v_div_fixup_f32 v5, v6, v7, v5
	v_fma_f32 v6, -v9, v11, 1.0
	v_fmac_f32_e32 v11, v6, v11
	v_div_scale_f32 v6, vcc, v4, v7, v4
	v_mul_f32_e32 v8, v6, v11
	v_fma_f32 v10, -v9, v8, v6
	v_fmac_f32_e32 v8, v10, v11
	v_fma_f32 v6, -v9, v8, v6
	v_div_fmas_f32 v6, v6, v11, v8
	v_div_fixup_f32 v4, v6, v7, v4
	global_store_dwordx2 v[2:3], v[4:5], off
	v_mov_b32_e32 v3, 0
.LBB0_282:                              ;   in Loop: Header=BB0_12 Depth=1
	s_or_b64 exec, exec, s[10:11]
	v_cmp_gt_i32_e32 vcc, s97, v3
	s_mov_b64 s[10:11], -1
	s_and_saveexec_b64 s[14:15], vcc
; %bb.283:                              ;   in Loop: Header=BB0_12 Depth=1
	v_cmp_eq_u32_e32 vcc, 0, v3
	s_orn2_b64 s[10:11], vcc, exec
; %bb.284:                              ;   in Loop: Header=BB0_12 Depth=1
	s_or_b64 exec, exec, s[14:15]
	s_and_b64 exec, exec, s[10:11]
	s_cbranch_execz .LBB0_10
; %bb.285:                              ;   in Loop: Header=BB0_12 Depth=1
	v_accvgpr_read_b32 v2, a17
	v_accvgpr_read_b32 v4, a18
	v_add_u32_e32 v2, v2, v109
	v_or_b32_e32 v3, v4, v107
	v_cmp_gt_i32_e32 vcc, s36, v2
	v_cmp_gt_i32_e64 s[10:11], s3, v3
	s_and_b64 s[14:15], vcc, s[10:11]
	v_mov_b32_e32 v3, 0x47
	s_and_saveexec_b64 s[10:11], s[14:15]
	s_cbranch_execz .LBB0_287
; %bb.286:                              ;   in Loop: Header=BB0_12 Depth=1
	v_accvgpr_read_b32 v6, a19
	v_add_u32_e32 v3, v89, v6
	ds_read2st64_b32 v[4:5], v3 offset1:17
	v_add_u32_e32 v3, 0, v6
	ds_read2_b32 v[6:7], v3 offset0:64 offset1:65
	ds_read_b32 v8, v3 offset:4608
	v_accvgpr_read_b32 v12, a18
	v_mad_u64_u32 v[2:3], s[14:15], v2, s37, v[12:13]
	s_waitcnt lgkmcnt(2)
	v_cvt_f32_f16_e32 v10, v4
	v_cvt_f32_f16_sdwa v11, v4 dst_sel:DWORD dst_unused:UNUSED_PAD src0_sel:WORD_1
	v_cvt_f32_f16_e32 v4, v5
	v_cvt_f32_f16_sdwa v5, v5 dst_sel:DWORD dst_unused:UNUSED_PAD src0_sel:WORD_1
	v_lshl_add_u32 v2, v2, 6, v30
	s_waitcnt lgkmcnt(1)
	v_pk_fma_f32 v[10:11], v[6:7], v[10:11], 0 op_sel_hi:[0,1,0]
	v_ashrrev_i32_e32 v3, 31, v2
	s_waitcnt lgkmcnt(0)
	v_pk_fma_f32 v[4:5], v[8:9], v[4:5], v[10:11] op_sel_hi:[0,1,1]
	v_div_scale_f32 v6, s[14:15], v7, v7, v5
	v_rcp_f32_e32 v8, v6
	v_lshl_add_u64 v[2:3], v[2:3], 3, v[136:137]
	v_fma_f32 v9, -v6, v8, 1.0
	v_fmac_f32_e32 v8, v9, v8
	v_div_scale_f32 v9, vcc, v5, v7, v5
	v_mul_f32_e32 v10, v9, v8
	v_fma_f32 v11, -v6, v10, v9
	v_fmac_f32_e32 v10, v11, v8
	v_fma_f32 v6, -v6, v10, v9
	v_div_scale_f32 v9, s[14:15], v7, v7, v4
	v_rcp_f32_e32 v11, v9
	v_div_fmas_f32 v6, v6, v8, v10
	v_div_fixup_f32 v5, v6, v7, v5
	v_fma_f32 v6, -v9, v11, 1.0
	v_fmac_f32_e32 v11, v6, v11
	v_div_scale_f32 v6, vcc, v4, v7, v4
	v_mul_f32_e32 v8, v6, v11
	v_fma_f32 v10, -v9, v8, v6
	v_fmac_f32_e32 v8, v10, v11
	v_fma_f32 v6, -v9, v8, v6
	v_div_fmas_f32 v6, v6, v11, v8
	v_div_fixup_f32 v4, v6, v7, v4
	global_store_dwordx2 v[2:3], v[4:5], off
	v_mov_b32_e32 v3, 0
.LBB0_287:                              ;   in Loop: Header=BB0_12 Depth=1
	s_or_b64 exec, exec, s[10:11]
	v_cmp_gt_i32_e32 vcc, s97, v3
	s_mov_b64 s[10:11], -1
	s_and_saveexec_b64 s[14:15], vcc
; %bb.288:                              ;   in Loop: Header=BB0_12 Depth=1
	v_cmp_eq_u32_e32 vcc, 0, v3
	s_orn2_b64 s[10:11], vcc, exec
; %bb.289:                              ;   in Loop: Header=BB0_12 Depth=1
	s_or_b64 exec, exec, s[14:15]
	s_and_b64 exec, exec, s[10:11]
	s_cbranch_execz .LBB0_10
; %bb.290:                              ;   in Loop: Header=BB0_12 Depth=1
	v_accvgpr_read_b32 v2, a20
	v_accvgpr_read_b32 v4, a22
	v_add_u32_e32 v2, v2, v109
	v_or_b32_e32 v3, v4, v107
	v_cmp_gt_i32_e32 vcc, s36, v2
	v_cmp_gt_i32_e64 s[10:11], s3, v3
	s_and_b64 s[14:15], vcc, s[10:11]
	v_mov_b32_e32 v3, 0x47
	s_and_saveexec_b64 s[10:11], s[14:15]
	s_cbranch_execz .LBB0_292
; %bb.291:                              ;   in Loop: Header=BB0_12 Depth=1
	v_accvgpr_read_b32 v6, a21
	v_add_u32_e32 v3, v89, v6
	ds_read2st64_b32 v[4:5], v3 offset1:17
	v_add_u32_e32 v3, 0, v6
	ds_read2_b32 v[6:7], v3 offset0:64 offset1:65
	ds_read_b32 v8, v3 offset:4608
	v_accvgpr_read_b32 v12, a22
	v_mad_u64_u32 v[2:3], s[14:15], v2, s37, v[12:13]
	s_waitcnt lgkmcnt(2)
	v_cvt_f32_f16_e32 v10, v4
	v_cvt_f32_f16_sdwa v11, v4 dst_sel:DWORD dst_unused:UNUSED_PAD src0_sel:WORD_1
	v_cvt_f32_f16_e32 v4, v5
	v_cvt_f32_f16_sdwa v5, v5 dst_sel:DWORD dst_unused:UNUSED_PAD src0_sel:WORD_1
	v_lshl_add_u32 v2, v2, 6, v30
	s_waitcnt lgkmcnt(1)
	v_pk_fma_f32 v[10:11], v[6:7], v[10:11], 0 op_sel_hi:[0,1,0]
	v_ashrrev_i32_e32 v3, 31, v2
	s_waitcnt lgkmcnt(0)
	v_pk_fma_f32 v[4:5], v[8:9], v[4:5], v[10:11] op_sel_hi:[0,1,1]
	v_div_scale_f32 v6, s[14:15], v7, v7, v5
	v_rcp_f32_e32 v8, v6
	v_lshl_add_u64 v[2:3], v[2:3], 3, v[136:137]
	v_fma_f32 v9, -v6, v8, 1.0
	v_fmac_f32_e32 v8, v9, v8
	v_div_scale_f32 v9, vcc, v5, v7, v5
	v_mul_f32_e32 v10, v9, v8
	v_fma_f32 v11, -v6, v10, v9
	v_fmac_f32_e32 v10, v11, v8
	v_fma_f32 v6, -v6, v10, v9
	v_div_scale_f32 v9, s[14:15], v7, v7, v4
	v_rcp_f32_e32 v11, v9
	v_div_fmas_f32 v6, v6, v8, v10
	v_div_fixup_f32 v5, v6, v7, v5
	v_fma_f32 v6, -v9, v11, 1.0
	v_fmac_f32_e32 v11, v6, v11
	v_div_scale_f32 v6, vcc, v4, v7, v4
	v_mul_f32_e32 v8, v6, v11
	v_fma_f32 v10, -v9, v8, v6
	v_fmac_f32_e32 v8, v10, v11
	v_fma_f32 v6, -v9, v8, v6
	v_div_fmas_f32 v6, v6, v11, v8
	v_div_fixup_f32 v4, v6, v7, v4
	global_store_dwordx2 v[2:3], v[4:5], off
	v_mov_b32_e32 v3, 0
.LBB0_292:                              ;   in Loop: Header=BB0_12 Depth=1
	s_or_b64 exec, exec, s[10:11]
	v_cmp_gt_i32_e32 vcc, s97, v3
	s_mov_b64 s[10:11], -1
	s_and_saveexec_b64 s[14:15], vcc
; %bb.293:                              ;   in Loop: Header=BB0_12 Depth=1
	v_cmp_eq_u32_e32 vcc, 0, v3
	s_orn2_b64 s[10:11], vcc, exec
; %bb.294:                              ;   in Loop: Header=BB0_12 Depth=1
	s_or_b64 exec, exec, s[14:15]
	s_and_b64 exec, exec, s[10:11]
	s_cbranch_execz .LBB0_10
; %bb.295:                              ;   in Loop: Header=BB0_12 Depth=1
	v_accvgpr_read_b32 v2, a23
	v_accvgpr_read_b32 v4, a24
	v_add_u32_e32 v2, v2, v109
	v_or_b32_e32 v3, v4, v107
	v_cmp_gt_i32_e32 vcc, s36, v2
	v_cmp_gt_i32_e64 s[10:11], s3, v3
	s_and_b64 s[14:15], vcc, s[10:11]
	v_mov_b32_e32 v3, 0x47
	s_and_saveexec_b64 s[10:11], s[14:15]
	s_cbranch_execz .LBB0_297
; %bb.296:                              ;   in Loop: Header=BB0_12 Depth=1
	v_accvgpr_read_b32 v6, a25
	v_add_u32_e32 v3, v89, v6
	ds_read2st64_b32 v[4:5], v3 offset1:17
	v_add_u32_e32 v3, 0, v6
	ds_read2_b32 v[6:7], v3 offset0:64 offset1:65
	ds_read_b32 v8, v3 offset:4608
	v_accvgpr_read_b32 v12, a24
	v_mad_u64_u32 v[2:3], s[14:15], v2, s37, v[12:13]
	s_waitcnt lgkmcnt(2)
	v_cvt_f32_f16_e32 v10, v4
	v_cvt_f32_f16_sdwa v11, v4 dst_sel:DWORD dst_unused:UNUSED_PAD src0_sel:WORD_1
	v_cvt_f32_f16_e32 v4, v5
	v_cvt_f32_f16_sdwa v5, v5 dst_sel:DWORD dst_unused:UNUSED_PAD src0_sel:WORD_1
	v_lshl_add_u32 v2, v2, 6, v30
	s_waitcnt lgkmcnt(1)
	v_pk_fma_f32 v[10:11], v[6:7], v[10:11], 0 op_sel_hi:[0,1,0]
	v_ashrrev_i32_e32 v3, 31, v2
	s_waitcnt lgkmcnt(0)
	v_pk_fma_f32 v[4:5], v[8:9], v[4:5], v[10:11] op_sel_hi:[0,1,1]
	v_div_scale_f32 v6, s[14:15], v7, v7, v5
	v_rcp_f32_e32 v8, v6
	v_lshl_add_u64 v[2:3], v[2:3], 3, v[136:137]
	v_fma_f32 v9, -v6, v8, 1.0
	v_fmac_f32_e32 v8, v9, v8
	v_div_scale_f32 v9, vcc, v5, v7, v5
	v_mul_f32_e32 v10, v9, v8
	v_fma_f32 v11, -v6, v10, v9
	v_fmac_f32_e32 v10, v11, v8
	v_fma_f32 v6, -v6, v10, v9
	v_div_scale_f32 v9, s[14:15], v7, v7, v4
	v_rcp_f32_e32 v11, v9
	v_div_fmas_f32 v6, v6, v8, v10
	v_div_fixup_f32 v5, v6, v7, v5
	v_fma_f32 v6, -v9, v11, 1.0
	v_fmac_f32_e32 v11, v6, v11
	v_div_scale_f32 v6, vcc, v4, v7, v4
	v_mul_f32_e32 v8, v6, v11
	v_fma_f32 v10, -v9, v8, v6
	v_fmac_f32_e32 v8, v10, v11
	v_fma_f32 v6, -v9, v8, v6
	v_div_fmas_f32 v6, v6, v11, v8
	v_div_fixup_f32 v4, v6, v7, v4
	global_store_dwordx2 v[2:3], v[4:5], off
	v_mov_b32_e32 v3, 0
.LBB0_297:                              ;   in Loop: Header=BB0_12 Depth=1
	s_or_b64 exec, exec, s[10:11]
	v_cmp_gt_i32_e32 vcc, s97, v3
	s_mov_b64 s[10:11], -1
	s_and_saveexec_b64 s[14:15], vcc
; %bb.298:                              ;   in Loop: Header=BB0_12 Depth=1
	v_cmp_eq_u32_e32 vcc, 0, v3
	s_orn2_b64 s[10:11], vcc, exec
; %bb.299:                              ;   in Loop: Header=BB0_12 Depth=1
	s_or_b64 exec, exec, s[14:15]
	s_and_b64 exec, exec, s[10:11]
	s_cbranch_execz .LBB0_10
; %bb.300:                              ;   in Loop: Header=BB0_12 Depth=1
	v_accvgpr_read_b32 v2, a26
	v_accvgpr_read_b32 v4, a28
	v_add_u32_e32 v2, v2, v109
	v_or_b32_e32 v3, v4, v107
	v_cmp_gt_i32_e32 vcc, s36, v2
	v_cmp_gt_i32_e64 s[10:11], s3, v3
	s_and_b64 s[14:15], vcc, s[10:11]
	v_mov_b32_e32 v3, 0x47
	s_and_saveexec_b64 s[10:11], s[14:15]
	s_cbranch_execz .LBB0_302
; %bb.301:                              ;   in Loop: Header=BB0_12 Depth=1
	v_accvgpr_read_b32 v6, a27
	v_add_u32_e32 v3, v89, v6
	ds_read2st64_b32 v[4:5], v3 offset1:17
	v_add_u32_e32 v3, 0, v6
	ds_read2_b32 v[6:7], v3 offset0:64 offset1:65
	ds_read_b32 v8, v3 offset:4608
	v_accvgpr_read_b32 v12, a28
	v_mad_u64_u32 v[2:3], s[14:15], v2, s37, v[12:13]
	s_waitcnt lgkmcnt(2)
	v_cvt_f32_f16_e32 v10, v4
	v_cvt_f32_f16_sdwa v11, v4 dst_sel:DWORD dst_unused:UNUSED_PAD src0_sel:WORD_1
	v_cvt_f32_f16_e32 v4, v5
	v_cvt_f32_f16_sdwa v5, v5 dst_sel:DWORD dst_unused:UNUSED_PAD src0_sel:WORD_1
	v_lshl_add_u32 v2, v2, 6, v30
	s_waitcnt lgkmcnt(1)
	v_pk_fma_f32 v[10:11], v[6:7], v[10:11], 0 op_sel_hi:[0,1,0]
	v_ashrrev_i32_e32 v3, 31, v2
	s_waitcnt lgkmcnt(0)
	v_pk_fma_f32 v[4:5], v[8:9], v[4:5], v[10:11] op_sel_hi:[0,1,1]
	v_div_scale_f32 v6, s[14:15], v7, v7, v5
	v_rcp_f32_e32 v8, v6
	v_lshl_add_u64 v[2:3], v[2:3], 3, v[136:137]
	v_fma_f32 v9, -v6, v8, 1.0
	v_fmac_f32_e32 v8, v9, v8
	v_div_scale_f32 v9, vcc, v5, v7, v5
	v_mul_f32_e32 v10, v9, v8
	v_fma_f32 v11, -v6, v10, v9
	v_fmac_f32_e32 v10, v11, v8
	v_fma_f32 v6, -v6, v10, v9
	v_div_scale_f32 v9, s[14:15], v7, v7, v4
	v_rcp_f32_e32 v11, v9
	v_div_fmas_f32 v6, v6, v8, v10
	v_div_fixup_f32 v5, v6, v7, v5
	v_fma_f32 v6, -v9, v11, 1.0
	v_fmac_f32_e32 v11, v6, v11
	v_div_scale_f32 v6, vcc, v4, v7, v4
	v_mul_f32_e32 v8, v6, v11
	v_fma_f32 v10, -v9, v8, v6
	v_fmac_f32_e32 v8, v10, v11
	v_fma_f32 v6, -v9, v8, v6
	v_div_fmas_f32 v6, v6, v11, v8
	v_div_fixup_f32 v4, v6, v7, v4
	global_store_dwordx2 v[2:3], v[4:5], off
	v_mov_b32_e32 v3, 0
.LBB0_302:                              ;   in Loop: Header=BB0_12 Depth=1
	s_or_b64 exec, exec, s[10:11]
	v_cmp_gt_i32_e32 vcc, s97, v3
	s_mov_b64 s[10:11], -1
	s_and_saveexec_b64 s[14:15], vcc
; %bb.303:                              ;   in Loop: Header=BB0_12 Depth=1
	v_cmp_eq_u32_e32 vcc, 0, v3
	s_orn2_b64 s[10:11], vcc, exec
; %bb.304:                              ;   in Loop: Header=BB0_12 Depth=1
	s_or_b64 exec, exec, s[14:15]
	s_and_b64 exec, exec, s[10:11]
	s_cbranch_execz .LBB0_10
; %bb.305:                              ;   in Loop: Header=BB0_12 Depth=1
	v_accvgpr_read_b32 v2, a29
	v_accvgpr_read_b32 v4, a30
	v_add_u32_e32 v2, v2, v109
	v_or_b32_e32 v3, v4, v107
	v_cmp_gt_i32_e32 vcc, s36, v2
	v_cmp_gt_i32_e64 s[10:11], s3, v3
	s_and_b64 s[10:11], vcc, s[10:11]
	s_and_b64 exec, exec, s[10:11]
	s_cbranch_execz .LBB0_10
; %bb.306:                              ;   in Loop: Header=BB0_12 Depth=1
	v_accvgpr_read_b32 v6, a31
	v_add_u32_e32 v3, v89, v6
	ds_read2st64_b32 v[4:5], v3 offset1:17
	v_add_u32_e32 v3, 0, v6
	ds_read2_b32 v[6:7], v3 offset0:64 offset1:65
	ds_read_b32 v8, v3 offset:4608
	v_accvgpr_read_b32 v12, a30
	v_mad_u64_u32 v[2:3], s[10:11], v2, s37, v[12:13]
	s_waitcnt lgkmcnt(2)
	v_cvt_f32_f16_e32 v10, v4
	v_cvt_f32_f16_sdwa v11, v4 dst_sel:DWORD dst_unused:UNUSED_PAD src0_sel:WORD_1
	v_cvt_f32_f16_e32 v4, v5
	v_cvt_f32_f16_sdwa v5, v5 dst_sel:DWORD dst_unused:UNUSED_PAD src0_sel:WORD_1
	v_lshl_add_u32 v2, v2, 6, v30
	s_waitcnt lgkmcnt(1)
	v_pk_fma_f32 v[10:11], v[6:7], v[10:11], 0 op_sel_hi:[0,1,0]
	v_ashrrev_i32_e32 v3, 31, v2
	s_waitcnt lgkmcnt(0)
	v_pk_fma_f32 v[4:5], v[8:9], v[4:5], v[10:11] op_sel_hi:[0,1,1]
	v_div_scale_f32 v6, s[10:11], v7, v7, v5
	v_rcp_f32_e32 v8, v6
	v_lshl_add_u64 v[2:3], v[2:3], 3, v[136:137]
	v_fma_f32 v9, -v6, v8, 1.0
	v_fmac_f32_e32 v8, v9, v8
	v_div_scale_f32 v9, vcc, v5, v7, v5
	v_mul_f32_e32 v10, v9, v8
	v_fma_f32 v11, -v6, v10, v9
	v_fmac_f32_e32 v10, v11, v8
	v_fma_f32 v6, -v6, v10, v9
	v_div_scale_f32 v9, s[10:11], v7, v7, v4
	v_rcp_f32_e32 v11, v9
	v_div_fmas_f32 v6, v6, v8, v10
	v_div_fixup_f32 v5, v6, v7, v5
	v_fma_f32 v6, -v9, v11, 1.0
	v_fmac_f32_e32 v11, v6, v11
	v_div_scale_f32 v6, vcc, v4, v7, v4
	v_mul_f32_e32 v8, v6, v11
	v_fma_f32 v10, -v9, v8, v6
	v_fmac_f32_e32 v8, v10, v11
	v_fma_f32 v6, -v9, v8, v6
	v_div_fmas_f32 v6, v6, v11, v8
	v_div_fixup_f32 v4, v6, v7, v4
	global_store_dwordx2 v[2:3], v[4:5], off
	s_branch .LBB0_10
.LBB0_307:
	v_accvgpr_read_b32 v198, a8
	s_andn2_b64 vcc, exec, s[10:11]
	s_cbranch_vccnz .LBB0_8
.LBB0_308:
	s_abs_i32 s0, s83
	v_cvt_f32_u32_e32 v2, s0
	s_sub_i32 s5, 0, s0
	s_abs_i32 s4, s56
	s_xor_b32 s1, s56, s83
	v_rcp_iflag_f32_e32 v2, v2
	s_ashr_i32 s1, s1, 31
	v_mov_b32_e32 v24, s98
	v_mul_f32_e32 v2, 0x4f7ffffe, v2
	v_cvt_u32_f32_e32 v2, v2
	s_nop 0
	v_readfirstlane_b32 s6, v2
	s_mul_i32 s5, s5, s6
	s_mul_hi_u32 s5, s6, s5
	s_add_i32 s6, s6, s5
	s_mul_hi_u32 s5, s4, s6
	s_mul_i32 s6, s5, s0
	s_sub_i32 s4, s4, s6
	s_add_i32 s7, s5, 1
	s_sub_i32 s6, s4, s0
	s_cmp_ge_u32 s4, s0
	s_cselect_b32 s5, s7, s5
	s_cselect_b32 s4, s6, s4
	s_add_i32 s6, s5, 1
	s_cmp_ge_u32 s4, s0
	s_cselect_b32 s0, s6, s5
	s_abs_i32 s4, s82
	v_cvt_f32_u32_e32 v2, s4
	s_xor_b32 s0, s0, s1
	s_sub_i32 s5, 0, s4
	s_sub_i32 s8, s0, s1
	v_rcp_iflag_f32_e32 v2, v2
	s_mul_i32 s0, s8, s83
	s_sub_i32 s0, s56, s0
	s_abs_i32 s6, s0
	v_mul_f32_e32 v2, 0x4f7ffffe, v2
	v_cvt_u32_f32_e32 v2, v2
	s_xor_b32 s1, s0, s82
	s_ashr_i32 s1, s1, 31
	v_readfirstlane_b32 s7, v2
	s_mul_i32 s5, s5, s7
	s_mul_hi_u32 s5, s7, s5
	s_add_i32 s7, s7, s5
	s_mul_hi_u32 s5, s6, s7
	s_mul_i32 s7, s5, s4
	s_sub_i32 s6, s6, s7
	s_add_i32 s9, s5, 1
	s_sub_i32 s7, s6, s4
	s_cmp_ge_u32 s6, s4
	s_cselect_b32 s5, s9, s5
	s_cselect_b32 s6, s7, s6
	s_add_i32 s7, s5, 1
	s_cmp_ge_u32 s6, s4
	s_cselect_b32 s4, s7, s5
	s_abs_i32 s5, s81
	v_cvt_f32_u32_e32 v2, s5
	s_xor_b32 s4, s4, s1
	s_sub_i32 s6, 0, s5
	s_sub_i32 s9, s4, s1
	v_rcp_iflag_f32_e32 v2, v2
	s_mul_i32 s1, s9, s82
	s_sub_i32 s1, s0, s1
	s_abs_i32 s4, s1
	v_mul_f32_e32 v2, 0x4f7ffffe, v2
	v_cvt_u32_f32_e32 v2, v2
	s_xor_b32 s0, s1, s81
	s_ashr_i32 s0, s0, 31
	v_readfirstlane_b32 s7, v2
	s_mul_i32 s6, s6, s7
	s_mul_hi_u32 s6, s7, s6
	s_add_i32 s7, s7, s6
	s_mul_hi_u32 s6, s4, s7
	s_mul_i32 s7, s6, s5
	s_sub_i32 s4, s4, s7
	s_add_i32 s10, s6, 1
	s_sub_i32 s7, s4, s5
	s_cmp_ge_u32 s4, s5
	s_cselect_b32 s6, s10, s6
	s_cselect_b32 s4, s7, s4
	s_add_i32 s7, s6, 1
	s_cmp_ge_u32 s4, s5
	s_cselect_b32 s4, s7, s6
	s_xor_b32 s4, s4, s0
	s_sub_i32 s0, s4, s0
	s_mul_i32 s4, s0, s81
	s_sub_i32 s1, s1, s4
	s_ashr_i32 s4, s1, 31
	s_abs_i32 s1, s1
	s_mul_hi_u32 s5, s1, s52
	s_mul_i32 s6, s5, s85
	s_sub_i32 s1, s1, s6
	s_xor_b32 s4, s4, s42
	s_add_i32 s6, s5, 1
	s_sub_i32 s7, s1, s85
	s_cmp_ge_u32 s1, s85
	s_cselect_b32 s5, s6, s5
	s_cselect_b32 s1, s7, s1
	s_add_i32 s6, s5, 1
	s_cmp_ge_u32 s1, s85
	s_cselect_b32 s1, s6, s5
	s_abs_i32 s11, s58
	v_cvt_f32_u32_e32 v2, s11
	s_xor_b32 s1, s1, s4
	s_sub_i32 s10, s1, s4
	s_cmp_eq_u64 s[26:27], 0
	v_rcp_iflag_f32_e32 v2, v2
	s_nop 0
	v_mul_f32_e32 v2, 0x4f7ffffe, v2
	v_cvt_u32_f32_e32 v2, v2
	s_nop 0
	v_readfirstlane_b32 s13, v2
	s_cbranch_scc1 .LBB0_310
; %bb.309:
	s_mul_i32 s1, s8, s80
	s_add_i32 s4, s10, s1
	s_ashr_i32 s5, s4, 31
	s_lshl_b64 s[4:5], s[4:5], 2
	s_add_u32 s4, s26, s4
	s_addc_u32 s5, s27, s5
	v_mov_b32_e32 v2, 0
	global_load_dword v2, v2, s[4:5]
	s_waitcnt vmcnt(0)
	v_ashrrev_i32_e32 v3, 31, v2
	v_lshrrev_b32_e32 v3, 26, v3
	v_add_u32_e32 v2, v2, v3
	v_ashrrev_i32_e32 v2, 6, v2
	v_min_i32_e32 v24, s98, v2
.LBB0_310:
	s_mul_i32 s1, s9, s3
	s_lshl_b32 s12, s0, 4
	s_add_i32 s0, s12, s1
	s_mul_i32 s1, s8, s55
	s_ashr_i32 s4, s1, 31
	s_add_u32 s1, s16, s1
	s_mul_i32 s0, s0, s54
	s_addc_u32 s4, s17, s4
	s_ashr_i32 s5, s0, 31
	s_add_u32 s6, s1, s0
	s_addc_u32 s7, s4, s5
	v_and_b32_e32 v54, 0x3ff, v0
	s_lshl_b32 s14, s10, 1
	v_bfe_u32 v0, v87, 4, 6
	v_add_u32_e32 v2, s14, v0
	v_or_b32_e32 v0, s12, v49
	v_cmp_le_i32_e64 s[0:1], s36, v2
	v_cmp_le_i32_e64 s[4:5], s3, v0
	s_mov_b32 s15, 0x10001
	v_lshl_add_u32 v55, v54, 2, 0
	v_cmp_gt_i32_e32 vcc, s3, v0
	s_or_b64 s[0:1], s[0:1], s[4:5]
	s_and_saveexec_b64 s[4:5], s[0:1]
	s_xor_b64 s[0:1], exec, s[4:5]
; %bb.311:
	s_movk_i32 s4, 0x190
	v_mad_u32_u24 v0, v71, s4, v55
	v_mov_b32_e32 v2, 0
	ds_write_b32 v0, v2
                                        ; implicit-def: $vgpr2
; %bb.312:
	s_or_saveexec_b64 s[0:1], s[0:1]
	v_mul_lo_u32 v0, v85, s15
	s_xor_b64 exec, exec, s[0:1]
	s_cbranch_execz .LBB0_314
; %bb.313:
	v_mul_lo_u32 v2, v2, s57
	v_mul_lo_u32 v3, v49, s61
	v_add3_u32 v2, v3, v54, v2
	v_ashrrev_i32_e32 v3, 31, v2
	v_lshl_add_u64 v[2:3], v[2:3], 3, s[6:7]
	global_load_dwordx2 v[2:3], v[2:3], off
	s_movk_i32 s4, 0x190
	s_waitcnt vmcnt(0)
	v_cvt_pk_f16_f32 v2, v2, v3
	v_pk_mul_f16 v2, v2, v0
	v_mad_u32_u24 v3, v71, s4, v55
	ds_write_b32 v3, v2
.LBB0_314:
	s_or_b64 exec, exec, s[0:1]
	v_lshrrev_b32_e32 v3, 4, v83
	v_and_b32_e32 v2, 15, v83
	v_add_u32_e32 v3, s14, v3
	v_or_b32_e32 v4, s12, v2
	v_cmp_le_i32_e64 s[0:1], s36, v3
	v_cmp_le_i32_e64 s[4:5], s3, v4
	s_or_b64 s[0:1], s[0:1], s[4:5]
	s_and_saveexec_b64 s[4:5], s[0:1]
	s_xor_b64 s[0:1], exec, s[4:5]
; %bb.315:
	s_movk_i32 s4, 0x190
	v_mad_u32_u24 v2, v83, s4, v55
	v_mov_b32_e32 v3, 0
	ds_write_b32 v2, v3
                                        ; implicit-def: $vgpr3
                                        ; implicit-def: $vgpr2
                                        ; implicit-def: $vgpr83
; %bb.316:
	s_andn2_saveexec_b64 s[0:1], s[0:1]
	s_cbranch_execz .LBB0_318
; %bb.317:
	v_mul_lo_u32 v3, v3, s57
	v_mul_lo_u32 v2, v2, s61
	v_add3_u32 v2, v2, v54, v3
	v_ashrrev_i32_e32 v3, 31, v2
	v_lshl_add_u64 v[2:3], v[2:3], 3, s[6:7]
	global_load_dwordx2 v[2:3], v[2:3], off
	s_movk_i32 s4, 0x190
	s_waitcnt vmcnt(0)
	v_cvt_pk_f16_f32 v2, v2, v3
	v_pk_mul_f16 v2, v2, v0
	v_mad_u32_u24 v3, v83, s4, v55
	ds_write_b32 v3, v2
.LBB0_318:
	s_or_b64 exec, exec, s[0:1]
	v_lshrrev_b32_e32 v3, 4, v81
	v_and_b32_e32 v2, 15, v81
	v_add_u32_e32 v3, s14, v3
	v_or_b32_e32 v4, s12, v2
	v_cmp_le_i32_e64 s[0:1], s36, v3
	v_cmp_le_i32_e64 s[4:5], s3, v4
	s_or_b64 s[0:1], s[0:1], s[4:5]
	s_and_saveexec_b64 s[4:5], s[0:1]
	s_xor_b64 s[0:1], exec, s[4:5]
; %bb.319:
	s_movk_i32 s4, 0x190
	v_mad_u32_u24 v2, v81, s4, v55
	v_mov_b32_e32 v3, 0
	ds_write_b32 v2, v3
                                        ; implicit-def: $vgpr3
                                        ; implicit-def: $vgpr2
                                        ; implicit-def: $vgpr81
; %bb.320:
	s_andn2_saveexec_b64 s[0:1], s[0:1]
	s_cbranch_execz .LBB0_322
; %bb.321:
	v_mul_lo_u32 v3, v3, s57
	v_mul_lo_u32 v2, v2, s61
	v_add3_u32 v2, v2, v54, v3
	v_ashrrev_i32_e32 v3, 31, v2
	v_lshl_add_u64 v[2:3], v[2:3], 3, s[6:7]
	global_load_dwordx2 v[2:3], v[2:3], off
	s_movk_i32 s4, 0x190
	s_waitcnt vmcnt(0)
	v_cvt_pk_f16_f32 v2, v2, v3
	v_pk_mul_f16 v2, v2, v0
	v_mad_u32_u24 v3, v81, s4, v55
	ds_write_b32 v3, v2
.LBB0_322:
	s_or_b64 exec, exec, s[0:1]
	v_lshrrev_b32_e32 v3, 4, v79
	v_and_b32_e32 v2, 15, v79
	v_add_u32_e32 v3, s14, v3
	v_or_b32_e32 v4, s12, v2
	v_cmp_le_i32_e64 s[0:1], s36, v3
	v_cmp_le_i32_e64 s[4:5], s3, v4
	s_or_b64 s[0:1], s[0:1], s[4:5]
	s_and_saveexec_b64 s[4:5], s[0:1]
	s_xor_b64 s[0:1], exec, s[4:5]
; %bb.323:
	s_movk_i32 s4, 0x190
	v_mad_u32_u24 v2, v79, s4, v55
	v_mov_b32_e32 v3, 0
	ds_write_b32 v2, v3
                                        ; implicit-def: $vgpr3
                                        ; implicit-def: $vgpr2
                                        ; implicit-def: $vgpr79
; %bb.324:
	s_andn2_saveexec_b64 s[0:1], s[0:1]
	s_cbranch_execz .LBB0_326
; %bb.325:
	v_mul_lo_u32 v3, v3, s57
	v_mul_lo_u32 v2, v2, s61
	v_add3_u32 v2, v2, v54, v3
	v_ashrrev_i32_e32 v3, 31, v2
	v_lshl_add_u64 v[2:3], v[2:3], 3, s[6:7]
	global_load_dwordx2 v[2:3], v[2:3], off
	s_movk_i32 s4, 0x190
	s_waitcnt vmcnt(0)
	v_cvt_pk_f16_f32 v2, v2, v3
	v_pk_mul_f16 v2, v2, v0
	v_mad_u32_u24 v3, v79, s4, v55
	ds_write_b32 v3, v2
.LBB0_326:
	s_or_b64 exec, exec, s[0:1]
	v_lshrrev_b32_e32 v2, 4, v35
	v_add_u32_e32 v2, s14, v2
	v_cmp_le_i32_e64 s[0:1], s36, v2
	s_xor_b64 s[4:5], vcc, -1
	s_or_b64 s[0:1], s[0:1], s[4:5]
	s_and_saveexec_b64 s[4:5], s[0:1]
	s_xor_b64 s[0:1], exec, s[4:5]
; %bb.327:
	s_movk_i32 s4, 0x190
	v_mad_u32_u24 v2, v35, s4, v55
	v_mov_b32_e32 v3, 0
	ds_write_b32 v2, v3
                                        ; implicit-def: $vgpr2
                                        ; implicit-def: $vgpr49
                                        ; implicit-def: $vgpr35
; %bb.328:
	s_andn2_saveexec_b64 s[0:1], s[0:1]
	s_cbranch_execz .LBB0_330
; %bb.329:
	v_mul_lo_u32 v2, v2, s57
	v_mul_lo_u32 v3, v49, s61
	v_add3_u32 v2, v3, v54, v2
	v_ashrrev_i32_e32 v3, 31, v2
	v_lshl_add_u64 v[2:3], v[2:3], 3, s[6:7]
	global_load_dwordx2 v[2:3], v[2:3], off
	s_movk_i32 s4, 0x190
	s_waitcnt vmcnt(0)
	v_cvt_pk_f16_f32 v2, v2, v3
	v_pk_mul_f16 v2, v2, v0
	v_mad_u32_u24 v3, v35, s4, v55
	ds_write_b32 v3, v2
.LBB0_330:
	s_or_b64 exec, exec, s[0:1]
	v_lshrrev_b32_e32 v3, 4, v33
	v_and_b32_e32 v2, 15, v33
	v_add_u32_e32 v3, s14, v3
	v_or_b32_e32 v4, s12, v2
	v_cmp_le_i32_e32 vcc, s36, v3
	v_cmp_le_i32_e64 s[0:1], s3, v4
	s_or_b64 s[0:1], vcc, s[0:1]
	s_and_saveexec_b64 s[4:5], s[0:1]
	s_xor_b64 s[0:1], exec, s[4:5]
; %bb.331:
	s_movk_i32 s4, 0x190
	v_mad_u32_u24 v2, v33, s4, v55
	v_mov_b32_e32 v3, 0
	ds_write_b32 v2, v3
                                        ; implicit-def: $vgpr3
                                        ; implicit-def: $vgpr2
                                        ; implicit-def: $vgpr33
; %bb.332:
	s_andn2_saveexec_b64 s[0:1], s[0:1]
	s_cbranch_execz .LBB0_334
; %bb.333:
	v_mul_lo_u32 v3, v3, s57
	v_mul_lo_u32 v2, v2, s61
	v_add3_u32 v2, v2, v54, v3
	v_ashrrev_i32_e32 v3, 31, v2
	v_lshl_add_u64 v[2:3], v[2:3], 3, s[6:7]
	global_load_dwordx2 v[2:3], v[2:3], off
	s_movk_i32 s4, 0x190
	s_waitcnt vmcnt(0)
	v_cvt_pk_f16_f32 v2, v2, v3
	v_pk_mul_f16 v2, v2, v0
	v_mad_u32_u24 v3, v33, s4, v55
	ds_write_b32 v3, v2
.LBB0_334:
	s_or_b64 exec, exec, s[0:1]
	v_lshrrev_b32_e32 v3, 4, v31
	v_and_b32_e32 v2, 15, v31
	v_add_u32_e32 v3, s14, v3
	v_or_b32_e32 v4, s12, v2
	v_cmp_le_i32_e32 vcc, s36, v3
	v_cmp_le_i32_e64 s[0:1], s3, v4
	s_or_b64 s[0:1], vcc, s[0:1]
	s_and_saveexec_b64 s[4:5], s[0:1]
	s_xor_b64 s[0:1], exec, s[4:5]
; %bb.335:
	s_movk_i32 s4, 0x190
	v_mad_u32_u24 v2, v31, s4, v55
	v_mov_b32_e32 v3, 0
	ds_write_b32 v2, v3
                                        ; implicit-def: $vgpr3
                                        ; implicit-def: $vgpr2
                                        ; implicit-def: $vgpr31
; %bb.336:
	s_andn2_saveexec_b64 s[0:1], s[0:1]
	s_cbranch_execz .LBB0_338
; %bb.337:
	v_mul_lo_u32 v3, v3, s57
	v_mul_lo_u32 v2, v2, s61
	v_add3_u32 v2, v2, v54, v3
	v_ashrrev_i32_e32 v3, 31, v2
	v_lshl_add_u64 v[2:3], v[2:3], 3, s[6:7]
	global_load_dwordx2 v[2:3], v[2:3], off
	s_movk_i32 s4, 0x190
	s_waitcnt vmcnt(0)
	v_cvt_pk_f16_f32 v2, v2, v3
	v_pk_mul_f16 v2, v2, v0
	v_mad_u32_u24 v3, v31, s4, v55
	ds_write_b32 v3, v2
.LBB0_338:
	s_or_b64 exec, exec, s[0:1]
	v_lshrrev_b32_e32 v3, 4, v1
	v_and_b32_e32 v2, 15, v1
	v_add_u32_e32 v3, s14, v3
	v_or_b32_e32 v4, s12, v2
	v_cmp_le_i32_e32 vcc, s36, v3
	v_cmp_le_i32_e64 s[0:1], s3, v4
	s_or_b64 s[0:1], vcc, s[0:1]
	s_and_saveexec_b64 s[4:5], s[0:1]
	s_xor_b64 s[0:1], exec, s[4:5]
; %bb.339:
	s_movk_i32 s4, 0x190
	v_mad_u32_u24 v1, v1, s4, v55
	v_mov_b32_e32 v2, 0
	ds_write_b32 v1, v2
                                        ; implicit-def: $vgpr3
                                        ; implicit-def: $vgpr2
                                        ; implicit-def: $vgpr1
; %bb.340:
	s_andn2_saveexec_b64 s[0:1], s[0:1]
	s_cbranch_execz .LBB0_342
; %bb.341:
	v_mul_lo_u32 v3, v3, s57
	v_mul_lo_u32 v2, v2, s61
	v_add3_u32 v2, v2, v54, v3
	v_ashrrev_i32_e32 v3, 31, v2
	v_lshl_add_u64 v[2:3], v[2:3], 3, s[6:7]
	global_load_dwordx2 v[2:3], v[2:3], off
	s_movk_i32 s4, 0x190
	v_mad_u32_u24 v1, v1, s4, v55
	s_waitcnt vmcnt(0)
	v_cvt_pk_f16_f32 v2, v2, v3
	v_pk_mul_f16 v2, v2, v0
	ds_write_b32 v1, v2
.LBB0_342:
	s_or_b64 exec, exec, s[0:1]
	v_lshrrev_b32_e32 v64, 5, v54
	v_lshl_add_u32 v25, v71, 1, v64
	v_lshrrev_b32_e32 v1, 4, v25
	v_and_b32_e32 v3, 15, v25
	v_add_u32_e32 v4, s14, v1
	v_or_b32_e32 v1, s12, v3
	v_cmp_le_i32_e64 s[0:1], s36, v4
	v_cmp_le_i32_e64 s[4:5], s3, v1
	v_and_b32_e32 v57, 31, v54
	v_cmp_gt_i32_e32 vcc, s3, v1
	s_or_b64 s[0:1], s[0:1], s[4:5]
	s_and_saveexec_b64 s[4:5], s[0:1]
	s_xor_b64 s[0:1], exec, s[4:5]
; %bb.343:
	v_mul_u32_u24_e32 v1, 0x190, v25
	v_lshlrev_b32_e32 v2, 2, v57
	v_add3_u32 v1, 0, v1, v2
	v_mov_b32_e32 v2, 0
	ds_write_b32 v1, v2 offset:256
                                        ; implicit-def: $vgpr4
; %bb.344:
	s_or_saveexec_b64 s[0:1], s[0:1]
	v_or_b32_e32 v2, 64, v57
	v_lshl_add_u32 v1, v57, 2, 0
	s_xor_b64 exec, exec, s[0:1]
	s_cbranch_execz .LBB0_346
; %bb.345:
	v_mul_lo_u32 v4, v4, s57
	v_mul_lo_u32 v5, v3, s61
	v_add3_u32 v4, v5, v2, v4
	v_ashrrev_i32_e32 v5, 31, v4
	v_lshl_add_u64 v[4:5], v[4:5], 3, s[6:7]
	global_load_dwordx2 v[4:5], v[4:5], off
	s_movk_i32 s4, 0x190
	s_waitcnt vmcnt(0)
	v_cvt_pk_f16_f32 v4, v4, v5
	v_pk_mul_f16 v4, v4, v0
	v_mad_u32_u24 v5, v25, s4, v1
	ds_write_b32 v5, v4 offset:256
.LBB0_346:
	s_or_b64 exec, exec, s[0:1]
	v_add_u32_e32 v4, 8, v25
	v_lshrrev_b32_e32 v6, 4, v4
	v_and_b32_e32 v5, 15, v4
	v_add_u32_e32 v6, s14, v6
	v_or_b32_e32 v7, s12, v5
	v_cmp_le_i32_e64 s[0:1], s36, v6
	v_cmp_le_i32_e64 s[4:5], s3, v7
	s_sub_i32 s15, 0, s11
	s_or_b64 s[0:1], s[0:1], s[4:5]
	s_and_saveexec_b64 s[4:5], s[0:1]
	s_xor_b64 s[0:1], exec, s[4:5]
; %bb.347:
	v_mul_u32_u24_e32 v4, 0x190, v4
	v_lshlrev_b32_e32 v5, 2, v57
	v_add3_u32 v4, 0, v4, v5
	v_mov_b32_e32 v5, 0
	ds_write_b32 v4, v5 offset:256
                                        ; implicit-def: $vgpr6
                                        ; implicit-def: $vgpr5
                                        ; implicit-def: $vgpr4
; %bb.348:
	s_or_saveexec_b64 s[0:1], s[0:1]
	s_mul_i32 s15, s15, s13
	s_xor_b64 exec, exec, s[0:1]
	s_cbranch_execz .LBB0_350
; %bb.349:
	v_mul_lo_u32 v6, v6, s57
	v_mul_lo_u32 v5, v5, s61
	v_add3_u32 v6, v5, v2, v6
	v_ashrrev_i32_e32 v7, 31, v6
	v_lshl_add_u64 v[6:7], v[6:7], 3, s[6:7]
	global_load_dwordx2 v[6:7], v[6:7], off
	s_movk_i32 s4, 0x190
	v_mad_u32_u24 v4, v4, s4, v1
	s_waitcnt vmcnt(0)
	v_cvt_pk_f16_f32 v5, v6, v7
	v_pk_mul_f16 v5, v5, v0
	ds_write_b32 v4, v5 offset:256
.LBB0_350:
	s_or_b64 exec, exec, s[0:1]
	v_add_u32_e32 v4, 16, v25
	v_lshrrev_b32_e32 v5, 4, v4
	v_add_u32_e32 v5, s14, v5
	v_cmp_le_i32_e64 s[0:1], s36, v5
	s_xor_b64 s[16:17], vcc, -1
	s_mul_hi_u32 s5, s13, s15
	s_or_b64 s[0:1], s[0:1], s[16:17]
	s_and_saveexec_b64 s[16:17], s[0:1]
	s_xor_b64 s[0:1], exec, s[16:17]
; %bb.351:
	v_mul_u32_u24_e32 v3, 0x190, v4
	v_lshlrev_b32_e32 v4, 2, v57
	v_add3_u32 v3, 0, v3, v4
	v_mov_b32_e32 v4, 0
	ds_write_b32 v3, v4 offset:256
                                        ; implicit-def: $vgpr5
                                        ; implicit-def: $vgpr3
                                        ; implicit-def: $vgpr4
; %bb.352:
	s_or_saveexec_b64 s[0:1], s[0:1]
	s_abs_i32 s4, s8
	s_add_i32 s13, s13, s5
	s_xor_b64 exec, exec, s[0:1]
	s_cbranch_execz .LBB0_354
; %bb.353:
	v_mul_lo_u32 v5, v5, s57
	v_mul_lo_u32 v3, v3, s61
	v_add3_u32 v6, v3, v2, v5
	v_ashrrev_i32_e32 v7, 31, v6
	v_lshl_add_u64 v[6:7], v[6:7], 3, s[6:7]
	global_load_dwordx2 v[6:7], v[6:7], off
	s_movk_i32 s5, 0x190
	v_mad_u32_u24 v4, v4, s5, v1
	s_waitcnt vmcnt(0)
	v_cvt_pk_f16_f32 v3, v6, v7
	v_pk_mul_f16 v3, v3, v0
	ds_write_b32 v4, v3 offset:256
.LBB0_354:
	s_or_b64 exec, exec, s[0:1]
	v_add_u32_e32 v3, 24, v25
	v_lshrrev_b32_e32 v5, 4, v3
	v_and_b32_e32 v4, 15, v3
	v_add_u32_e32 v5, s14, v5
	v_or_b32_e32 v6, s12, v4
	v_cmp_le_i32_e32 vcc, s36, v5
	v_cmp_le_i32_e64 s[0:1], s3, v6
	s_mul_hi_u32 s5, s4, s13
	s_or_b64 s[0:1], vcc, s[0:1]
	s_and_saveexec_b64 s[12:13], s[0:1]
	s_xor_b64 s[0:1], exec, s[12:13]
; %bb.355:
	v_mul_u32_u24_e32 v0, 0x190, v3
	v_lshlrev_b32_e32 v1, 2, v57
	v_add3_u32 v0, 0, v0, v1
	v_mov_b32_e32 v1, 0
	ds_write_b32 v0, v1 offset:256
                                        ; implicit-def: $vgpr5
                                        ; implicit-def: $vgpr4
                                        ; implicit-def: $vgpr2
                                        ; implicit-def: $vgpr0
                                        ; implicit-def: $vgpr3
                                        ; implicit-def: $vgpr1
; %bb.356:
	s_or_saveexec_b64 s[0:1], s[0:1]
	s_ashr_i32 s3, s8, 31
	s_xor_b64 exec, exec, s[0:1]
	s_cbranch_execz .LBB0_358
; %bb.357:
	v_mul_lo_u32 v5, v5, s57
	v_mul_lo_u32 v4, v4, s61
	v_add3_u32 v4, v4, v2, v5
	v_ashrrev_i32_e32 v5, 31, v4
	v_lshl_add_u64 v[4:5], v[4:5], 3, s[6:7]
	global_load_dwordx2 v[4:5], v[4:5], off
	s_movk_i32 s6, 0x190
	v_mad_u32_u24 v1, v3, s6, v1
	s_waitcnt vmcnt(0)
	v_cvt_pk_f16_f32 v2, v4, v5
	v_pk_mul_f16 v0, v2, v0
	ds_write_b32 v1, v0 offset:256
.LBB0_358:
	s_or_b64 exec, exec, s[0:1]
	s_mul_hi_u32 s0, s40, s8
	s_mul_i32 s1, s40, s3
	s_add_i32 s0, s0, s1
	s_mul_i32 s1, s41, s8
	s_add_i32 s0, s0, s1
	s_mul_i32 s1, s40, s8
	s_add_u32 s1, s18, s1
	s_mul_i32 s6, s9, s53
	s_addc_u32 s0, s19, s0
	s_ashr_i32 s7, s6, 31
	s_add_u32 s12, s1, s6
	s_mul_i32 s5, s5, s11
	s_addc_u32 s13, s0, s7
	s_sub_i32 s0, s4, s5
	s_sub_i32 s1, s0, s11
	s_cmp_ge_u32 s0, s11
	s_cselect_b32 s0, s1, s0
	s_sub_i32 s1, s0, s11
	s_cmp_ge_u32 s0, s11
	s_cselect_b32 s0, s1, s0
	s_xor_b32 s0, s0, s3
	s_sub_i32 s0, s0, s3
	s_ashr_i32 s1, s0, 31
	s_mul_i32 s1, s50, s1
	s_mul_hi_u32 s4, s50, s0
	s_add_i32 s1, s4, s1
	s_mul_i32 s4, s51, s0
	s_add_i32 s1, s1, s4
	s_mul_i32 s0, s50, s0
	s_add_u32 s4, s22, s0
	s_addc_u32 s5, s23, s1
	s_mul_hi_u32 s0, s48, s8
	s_mul_i32 s1, s48, s3
	s_add_i32 s0, s0, s1
	s_mul_i32 s1, s49, s8
	s_add_i32 s0, s0, s1
	s_mul_i32 s1, s48, s8
	s_add_u32 s1, s20, s1
	s_mul_i32 s9, s9, s43
	s_addc_u32 s0, s21, s0
	s_ashr_i32 s6, s9, 31
	s_add_u32 s3, s1, s9
	v_lshrrev_b32_e32 v27, 3, v54
	s_addc_u32 s11, s0, s6
	v_and_b32_e32 v0, 0x1ff0, v75
	s_movk_i32 s0, 0x190
	v_and_b32_e32 v58, 15, v54
	v_and_b32_e32 v60, 0x7e, v27
	v_mad_u32_u24 v0, v0, s0, 0
	v_mul_u32_u24_e32 v1, 0x190, v58
	v_lshlrev_b32_e32 v59, 2, v60
	v_add3_u32 v16, v0, v1, v59
	s_waitcnt lgkmcnt(0)
	s_barrier
	ds_read2_b64 v[12:15], v16 offset1:4
	ds_read2_b64 v[8:11], v16 offset0:8 offset1:12
	ds_read2_b64 v[4:7], v16 offset0:16 offset1:20
	;; [unrolled: 1-line block ×5, first 2 shown]
	v_add_u32_e32 v69, -1, v24
	v_cmp_ge_i32_e32 vcc, s76, v69
	v_add_u32_e32 v66, v75, v27
	s_and_b64 vcc, exec, vcc
	v_cmp_gt_u32_e64 s[0:1], 2, v25
	v_add_u32_e32 v67, 32, v66
	v_lshrrev_b32_e32 v68, 4, v54
	v_mul_lo_u32 v26, s38, v66
	v_lshlrev_b32_e32 v24, 4, v58
	v_lshrrev_b32_e32 v65, 2, v54
	v_lshrrev_b32_e32 v56, 1, v71
	v_and_b32_e32 v62, 8, v75
	v_or_b32_e32 v63, 1, v27
	v_lshlrev_b32_e32 v61, 1, v58
	s_waitcnt lgkmcnt(0)
	s_barrier
	s_cbranch_vccnz .LBB0_365
; %bb.359:
	v_add_u32_e32 v27, s10, v71
	v_lshl_add_u32 v27, v27, 1, v64
	v_mul_hi_u32 v28, s44, v27
	v_add_u32_e32 v28, v27, v28
	v_lshrrev_b32_e32 v28, s45, v28
	v_mul_lo_u32 v28, v28, s36
	v_sub_u32_e32 v27, v27, v28
	v_lshlrev_b32_e32 v42, 2, v54
	v_mul_u32_u24_e32 v29, 0x90, v25
	v_and_b32_e32 v28, 0x7c, v42
	v_mad_i64_i32 v[30:31], s[6:7], v27, s46, 0
	v_add3_u32 v72, 0, v29, v28
	v_lshl_add_u64 v[30:31], v[30:31], 1, s[4:5]
	v_mov_b32_e32 v29, 0
	v_lshl_add_u64 v[30:31], v[30:31], 0, v[28:29]
	v_and_b32_e32 v28, 28, v42
	v_mul_u32_u24_e32 v44, 0x110, v67
	v_mul_u32_u24_e32 v47, 0x110, v66
	v_lshlrev_b32_e32 v42, 2, v28
	v_and_b32_e32 v43, 16, v73
	v_lshl_add_u32 v45, v71, 2, v68
	v_add3_u32 v74, 0, v47, v42
	v_add3_u32 v76, 0, v44, v42
	v_and_b32_e32 v42, 0xfc, v65
	s_movk_i32 s8, 0x90
	v_mul_u32_u24_e32 v46, 0x110, v45
	v_add_u32_e32 v44, v42, v43
	v_add_u16_e32 v42, v42, v43
	v_add3_u32 v77, 0, v46, v24
	v_mad_u32_u24 v46, v56, s8, 0
	v_lshrrev_b16_e32 v42, 1, v42
	v_lshl_add_u32 v53, v42, 2, v46
	v_lshl_add_u32 v42, v44, 1, v46
	v_add_u32_e32 v81, 64, v42
	v_add_u32_e32 v82, 0x44, v42
	v_mbcnt_hi_u32_b32 v42, -1, v198
	v_mul_u32_u24_e32 v52, 0x110, v43
	v_and_b32_e32 v43, 64, v42
	v_add_u32_e32 v43, 64, v43
	v_xor_b32_e32 v44, 32, v42
	v_cmp_lt_i32_e32 vcc, v44, v43
	v_mul_lo_u32 v34, s38, v45
	s_lshl_b32 s6, s38, 4
	v_cndmask_b32_e32 v44, v42, v44, vcc
	v_lshlrev_b32_e32 v84, 2, v44
	v_xor_b32_e32 v44, 16, v42
	v_add_u32_e32 v36, s6, v34
	v_cmp_lt_i32_e32 vcc, v44, v43
	v_add_u32_e32 v38, s6, v36
	v_add_u32_e32 v40, s6, v38
	v_cndmask_b32_e32 v42, v42, v44, vcc
	v_lshlrev_b32_e32 v86, 2, v42
	v_mul_lo_u32 v42, s34, v45
	s_lshl_b32 s6, s34, 4
	v_add_u32_e32 v44, s6, v42
	v_add_u32_e32 v46, s6, v44
	v_add_u32_e32 v48, s6, v46
	s_movk_i32 s6, 0x220
	v_mul_u32_u24_e32 v70, 0x110, v60
	v_mad_u32_u24 v85, v62, s6, 0
	v_mul_u32_u24_e32 v27, 0x110, v58
	v_mul_u32_u24_e32 v83, 0x110, v63
	v_lshlrev_b32_e32 v70, 1, v70
	v_add_u32_e32 v87, v85, v61
	v_add3_u32 v51, 0, v27, v59
	v_mul_lo_u32 v32, s38, v67
	v_lshlrev_b32_e32 v50, 2, v58
	v_add3_u32 v95, v85, v70, v61
	v_add_u32_e32 v97, v87, v70
	v_lshlrev_b32_e32 v70, 1, v83
	v_ashrrev_i32_e32 v33, 31, v32
	v_ashrrev_i32_e32 v35, 31, v34
	;; [unrolled: 1-line block ×6, first 2 shown]
	v_add_u32_e32 v78, 0x1100, v77
	v_add_u32_e32 v79, 0x2200, v77
	;; [unrolled: 1-line block ×3, first 2 shown]
	v_ashrrev_i32_e32 v43, 31, v42
	v_ashrrev_i32_e32 v45, 31, v44
	;; [unrolled: 1-line block ×4, first 2 shown]
	v_add3_u32 v99, v85, v70, v61
	v_add_u32_e32 v100, v87, v70
	s_lshl_b32 s6, s76, 6
	v_mov_b32_e32 v70, 0xfeffffff
	v_lshlrev_b32_e32 v28, 2, v28
	v_add_u32_e32 v103, v51, v52
	v_lshlrev_b32_e32 v50, 2, v50
	v_add_u32_e32 v104, 0x4400, v53
	s_mov_b32 s14, 0x3fb8aa3b
	s_mov_b32 s15, 0xc2ce8ed0
	;; [unrolled: 1-line block ×5, first 2 shown]
	v_mov_b32_e32 v105, 0x7f800000
	v_mov_b32_e32 v106, v29
	;; [unrolled: 1-line block ×18, first 2 shown]
	s_ashr_i32 s7, s6, 31
	s_and_saveexec_b64 s[8:9], s[0:1]
	s_cbranch_execz .LBB0_361
.LBB0_360:
	v_lshl_add_u64 v[108:109], s[6:7], 1, v[30:31]
	global_load_dword v51, v[108:109], off
	s_waitcnt vmcnt(0)
	ds_write_b32 v72, v51 offset:17408
.LBB0_361:                              ; =>This Inner Loop Header: Depth=1
	s_or_b64 exec, exec, s[8:9]
	s_mul_hi_i32 s9, s6, s38
	s_mul_i32 s8, s6, s38
	s_lshl_b64 s[8:9], s[8:9], 2
	s_add_u32 s8, s12, s8
	s_addc_u32 s9, s13, s9
	v_lshl_add_u64 v[108:109], v[26:27], 2, s[8:9]
	v_lshl_add_u64 v[116:117], v[108:109], 0, v[28:29]
	;; [unrolled: 1-line block ×4, first 2 shown]
	global_load_dwordx4 v[108:111], v[116:117], off offset:256
	global_load_dwordx4 v[112:115], v[118:119], off offset:256
	v_add_u32_e32 v107, 0x2000, v103
	v_mov_b32_e32 v51, v29
	v_lshl_add_u64 v[120:121], v[36:37], 2, s[8:9]
	v_lshl_add_u64 v[122:123], v[38:39], 2, s[8:9]
	;; [unrolled: 1-line block ×6, first 2 shown]
	s_waitcnt vmcnt(1)
	ds_write_b128 v74, v[108:111]
	s_waitcnt vmcnt(0)
	ds_write_b128 v76, v[112:115]
	s_waitcnt lgkmcnt(0)
	s_barrier
	ds_read2_b64 v[108:111], v103 offset1:4
	ds_read2_b64 v[112:115], v107 offset0:64 offset1:68
	ds_read2_b64 v[116:119], v103 offset0:8 offset1:12
	s_waitcnt lgkmcnt(2)
	v_mfma_f32_16x16x16_f16 a[0:3], v[108:109], v[20:21], 0
	v_mfma_f32_16x16x16_f16 a[0:3], v[110:111], v[22:23], a[0:3]
	ds_read2_b64 v[108:111], v107 offset0:72 offset1:76
	s_waitcnt lgkmcnt(0)
	s_barrier
	v_mfma_f32_16x16x16_f16 a[4:7], v[112:113], v[20:21], 0
	v_lshl_add_u64 v[112:113], v[34:35], 2, s[8:9]
	v_lshl_add_u64 v[112:113], v[112:113], 0, v[50:51]
	v_mfma_f32_16x16x16_f16 a[0:3], v[116:117], v[16:17], a[0:3]
	s_mul_hi_i32 s9, s6, s34
	s_mul_i32 s8, s6, s34
	s_lshl_b64 s[8:9], s[8:9], 2
	v_mfma_f32_16x16x16_f16 a[4:7], v[114:115], v[22:23], a[4:7]
	global_load_dwordx4 v[112:115], v[112:113], off
	s_nop 0
	global_load_dwordx4 v[120:123], v[120:121], off
	s_add_u32 s8, s3, s8
	s_addc_u32 s9, s11, s9
	v_mfma_f32_16x16x16_f16 a[0:3], v[118:119], v[18:19], a[0:3]
	global_load_dwordx4 v[116:119], v[126:127], off
	s_nop 0
	global_load_dwordx4 v[124:127], v[124:125], off
	s_add_i32 s76, s76, 1
	s_add_i32 s6, s6, 64
	v_mfma_f32_16x16x16_f16 a[4:7], v[108:109], v[16:17], a[4:7]
	s_waitcnt vmcnt(3)
	ds_write_b128 v77, v[112:115]
	s_waitcnt vmcnt(2)
	ds_write_b128 v78, v[120:123]
	s_waitcnt vmcnt(1)
	ds_write_b128 v79, v[116:119]
	s_waitcnt vmcnt(0)
	ds_write_b128 v80, v[124:127]
	v_mfma_f32_16x16x16_f16 a[4:7], v[110:111], v[18:19], a[4:7]
	s_waitcnt lgkmcnt(0)
	s_barrier
	ds_read2_b64 v[108:111], v103 offset1:4
	ds_read2_b64 v[112:115], v107 offset0:64 offset1:68
	s_waitcnt lgkmcnt(1)
	v_mfma_f32_16x16x16_f16 a[0:3], v[108:109], v[12:13], a[0:3]
	v_lshl_add_u64 v[120:121], v[42:43], 2, s[8:9]
	v_lshl_add_u64 v[122:123], v[46:47], 2, s[8:9]
	;; [unrolled: 1-line block ×3, first 2 shown]
	v_mfma_f32_16x16x16_f16 a[0:3], v[110:111], v[14:15], a[0:3]
	ds_read2_b64 v[108:111], v103 offset0:8 offset1:12
	s_waitcnt lgkmcnt(1)
	v_mfma_f32_16x16x16_f16 a[4:7], v[112:113], v[12:13], a[4:7]
	v_mfma_f32_16x16x16_f16 a[4:7], v[114:115], v[14:15], a[4:7]
	ds_read2_b64 v[112:115], v107 offset0:72 offset1:76
	s_waitcnt lgkmcnt(1)
	v_mfma_f32_16x16x16_f16 a[0:3], v[108:109], v[8:9], a[0:3]
	v_mfma_f32_16x16x16_f16 a[0:3], v[110:111], v[10:11], a[0:3]
	ds_read2_b64 v[108:111], v103 offset0:16 offset1:20
	ds_read2_b64 v[116:119], v107 offset0:80 offset1:84
	s_waitcnt lgkmcnt(2)
	v_mfma_f32_16x16x16_f16 a[4:7], v[112:113], v[8:9], a[4:7]
	s_waitcnt lgkmcnt(1)
	v_mfma_f32_16x16x16_f16 a[0:3], v[108:109], v[4:5], a[0:3]
	v_mfma_f32_16x16x16_f16 a[4:7], v[114:115], v[10:11], a[4:7]
	ds_read2_b64 v[112:115], v103 offset0:24 offset1:28
	v_mfma_f32_16x16x16_f16 a[0:3], v[110:111], v[6:7], a[0:3]
	ds_read2_b64 v[108:111], v107 offset0:88 offset1:92
	s_waitcnt lgkmcnt(0)
	s_barrier
	v_mfma_f32_16x16x16_f16 a[4:7], v[116:117], v[4:5], a[4:7]
	v_lshl_add_u64 v[116:117], v[44:45], 2, s[8:9]
	v_mfma_f32_16x16x16_f16 a[4:7], v[118:119], v[6:7], a[4:7]
	ds_read2_b32 v[118:119], v104 offset1:1
	v_mfma_f32_16x16x16_f16 a[0:3], v[112:113], v[0:1], a[0:3]
	ds_read_b32 v107, v81 offset:17408
	ds_read_b32 v112, v82 offset:17408
	s_waitcnt lgkmcnt(2)
	v_cvt_f32_f16_e32 v113, v118
	v_cvt_f32_f16_sdwa v118, v118 dst_sel:DWORD dst_unused:UNUSED_PAD src0_sel:WORD_1
	v_mfma_f32_16x16x16_f16 a[4:7], v[108:109], v[0:1], a[4:7]
	v_cvt_f32_f16_e32 v108, v119
	v_cvt_f32_f16_sdwa v109, v119 dst_sel:DWORD dst_unused:UNUSED_PAD src0_sel:WORD_1
	s_waitcnt lgkmcnt(1)
	v_cvt_f32_f16_e32 v119, v107
	v_mfma_f32_16x16x16_f16 a[0:3], v[114:115], v[2:3], a[0:3]
	v_cvt_f32_f16_sdwa v107, v107 dst_sel:DWORD dst_unused:UNUSED_PAD src0_sel:WORD_1
	s_waitcnt lgkmcnt(0)
	v_cvt_f32_f16_e32 v114, v112
	v_cvt_f32_f16_sdwa v112, v112 dst_sel:DWORD dst_unused:UNUSED_PAD src0_sel:WORD_1
	v_mfma_f32_16x16x16_f16 a[4:7], v[110:111], v[2:3], a[4:7]
	s_nop 2
	v_accvgpr_read_b32 v110, a0
	v_accvgpr_read_b32 v111, a1
	;; [unrolled: 1-line block ×4, first 2 shown]
	v_add_f32_e32 v131, v110, v113
	v_add_f32_e32 v132, v111, v118
	v_accvgpr_read_b32 v127, a4
	v_accvgpr_read_b32 v128, a5
	v_add_f32_e32 v133, v115, v108
	v_add_f32_e32 v126, v126, v109
	v_add_f32_e32 v108, 0x40051340, v131
	v_add_f32_e32 v109, 0x40051340, v132
	v_accvgpr_read_b32 v129, a6
	v_accvgpr_read_b32 v130, a7
	v_add_f32_e32 v127, v127, v119
	v_add_f32_e32 v107, v128, v107
	;; [unrolled: 1-line block ×4, first 2 shown]
	v_max3_f32 v108, v70, v108, v109
	v_add_f32_e32 v128, v129, v114
	v_add_f32_e32 v129, v130, v112
	;; [unrolled: 1-line block ×4, first 2 shown]
	v_max3_f32 v108, v108, v110, v111
	v_add_f32_e32 v114, 0x40051340, v128
	v_add_f32_e32 v115, 0x40051340, v129
	v_max3_f32 v108, v108, v112, v113
	v_max3_f32 v110, v108, v114, v115
	ds_bpermute_b32 v111, v84, v110
	v_lshl_add_u64 v[108:109], v[120:121], 0, v[50:51]
	v_lshl_add_u64 v[112:113], v[116:117], 0, v[50:51]
	;; [unrolled: 1-line block ×4, first 2 shown]
	s_waitcnt lgkmcnt(0)
	v_max_f32_e32 v51, v111, v111
	v_max_f32_e32 v51, v110, v51
	global_load_dwordx4 v[108:111], v[108:109], off
	s_nop 0
	global_load_dwordx4 v[112:115], v[112:113], off
	s_nop 0
	;; [unrolled: 2-line block ×3, first 2 shown]
	global_load_dwordx4 v[120:123], v[120:121], off
	ds_bpermute_b32 v124, v86, v51
	s_waitcnt vmcnt(3)
	ds_write_b128 v77, v[108:111]
	s_waitcnt vmcnt(2)
	ds_write_b128 v78, v[112:115]
	;; [unrolled: 2-line block ×4, first 2 shown]
	s_waitcnt lgkmcnt(4)
	v_max_f32_e32 v124, v124, v124
	v_max_f32_e32 v51, v51, v124
	v_sub_f32_e32 v124, v131, v51
	v_sub_f32_e32 v125, v132, v51
	v_mul_f32_e32 v131, 0x3fb8aa3b, v124
	v_sub_f32_e32 v130, v133, v51
	v_mul_f32_e32 v132, 0x3fb8aa3b, v125
	v_fma_f32 v138, v124, s14, -v131
	v_rndne_f32_e32 v139, v131
	v_sub_f32_e32 v126, v126, v51
	v_mul_f32_e32 v133, 0x3fb8aa3b, v130
	v_fma_f32 v140, v125, s14, -v132
	v_rndne_f32_e32 v141, v132
	v_fmac_f32_e32 v138, 0x32a5705f, v124
	v_sub_f32_e32 v131, v131, v139
	v_sub_f32_e32 v127, v127, v51
	v_mul_f32_e32 v134, 0x3fb8aa3b, v126
	v_fma_f32 v142, v130, s14, -v133
	v_rndne_f32_e32 v143, v133
	v_fmac_f32_e32 v140, 0x32a5705f, v125
	v_sub_f32_e32 v132, v132, v141
	v_add_f32_e32 v131, v131, v138
	v_sub_f32_e32 v107, v107, v51
	v_mul_f32_e32 v135, 0x3fb8aa3b, v127
	v_fma_f32 v144, v126, s14, -v134
	v_rndne_f32_e32 v145, v134
	v_cvt_i32_f32_e32 v139, v139
	v_fmac_f32_e32 v142, 0x32a5705f, v130
	v_sub_f32_e32 v133, v133, v143
	v_add_f32_e32 v132, v132, v140
	v_exp_f32_e32 v131, v131
	v_sub_f32_e32 v128, v128, v51
	v_mul_f32_e32 v136, 0x3fb8aa3b, v107
	v_fma_f32 v146, v127, s14, -v135
	v_rndne_f32_e32 v147, v135
	v_cvt_i32_f32_e32 v141, v141
	v_fmac_f32_e32 v144, 0x32a5705f, v126
	v_sub_f32_e32 v134, v134, v145
	v_add_f32_e32 v133, v133, v142
	v_exp_f32_e32 v132, v132
	v_mul_f32_e32 v137, 0x3fb8aa3b, v128
	v_fma_f32 v148, v107, s14, -v136
	v_rndne_f32_e32 v149, v136
	v_cvt_i32_f32_e32 v143, v143
	v_fmac_f32_e32 v146, 0x32a5705f, v127
	v_sub_f32_e32 v135, v135, v147
	v_add_f32_e32 v134, v134, v144
	v_exp_f32_e32 v133, v133
	v_fma_f32 v150, v128, s14, -v137
	v_rndne_f32_e32 v151, v137
	v_cvt_i32_f32_e32 v145, v145
	v_fmac_f32_e32 v148, 0x32a5705f, v107
	v_sub_f32_e32 v136, v136, v149
	v_add_f32_e32 v135, v135, v146
	v_exp_f32_e32 v134, v134
	v_cvt_i32_f32_e32 v147, v147
	v_fmac_f32_e32 v150, 0x32a5705f, v128
	v_sub_f32_e32 v137, v137, v151
	v_add_f32_e32 v136, v136, v148
	v_exp_f32_e32 v135, v135
	v_ldexp_f32 v131, v131, v139
	v_cmp_ngt_f32_e32 vcc, s15, v124
	v_cvt_i32_f32_e32 v149, v149
	v_add_f32_e32 v137, v137, v150
	v_exp_f32_e32 v136, v136
	v_ldexp_f32 v132, v132, v141
	v_cndmask_b32_e32 v131, 0, v131, vcc
	v_cmp_ngt_f32_e32 vcc, s15, v125
	v_cvt_i32_f32_e32 v151, v151
	v_exp_f32_e32 v137, v137
	v_ldexp_f32 v133, v133, v143
	v_cndmask_b32_e32 v132, 0, v132, vcc
	v_cmp_ngt_f32_e32 vcc, s15, v130
	v_ldexp_f32 v134, v134, v145
	v_ldexp_f32 v135, v135, v147
	v_cndmask_b32_e32 v133, 0, v133, vcc
	v_cmp_ngt_f32_e32 vcc, s15, v126
	v_ldexp_f32 v136, v136, v149
	v_ldexp_f32 v137, v137, v151
	v_cndmask_b32_e32 v134, 0, v134, vcc
	v_cmp_ngt_f32_e32 vcc, s15, v127
	v_sub_f32_e32 v129, v129, v51
	v_sub_f32_e32 v70, v70, v51
	v_cndmask_b32_e32 v135, 0, v135, vcc
	v_cmp_ngt_f32_e32 vcc, s15, v107
	s_waitcnt lgkmcnt(0)
	s_barrier
	v_cndmask_b32_e32 v136, 0, v136, vcc
	v_cmp_ngt_f32_e32 vcc, s15, v128
	s_nop 1
	v_cndmask_b32_e32 v137, 0, v137, vcc
	v_cmp_nlt_f32_e32 vcc, s16, v124
	s_nop 1
	v_cndmask_b32_e32 v124, v105, v131, vcc
	v_cmp_nlt_f32_e32 vcc, s16, v125
	;; [unrolled: 3-line block ×3, first 2 shown]
	v_mul_f32_e32 v132, 0x3fb8aa3b, v129
	s_nop 0
	v_cndmask_b32_e32 v130, v105, v133, vcc
	v_cmp_nlt_f32_e32 vcc, s16, v126
	v_fma_f32 v133, v129, s14, -v132
	v_fmac_f32_e32 v133, 0x32a5705f, v129
	v_cndmask_b32_e32 v126, v105, v134, vcc
	v_rndne_f32_e32 v134, v132
	v_cmp_nlt_f32_e32 vcc, s16, v127
	v_sub_f32_e32 v132, v132, v134
	v_add_f32_e32 v132, v132, v133
	v_cndmask_b32_e32 v127, v105, v135, vcc
	v_cmp_nlt_f32_e32 vcc, s16, v107
	v_cvt_i32_f32_e32 v133, v134
	v_mul_f32_e32 v134, 0x3fb8aa3b, v70
	v_cndmask_b32_e32 v131, v105, v136, vcc
	v_fma_f32 v135, v70, s14, -v134
	v_rndne_f32_e32 v136, v134
	v_fmac_f32_e32 v135, 0x32a5705f, v70
	v_sub_f32_e32 v134, v134, v136
	v_exp_f32_e32 v132, v132
	v_add_f32_e32 v134, v134, v135
	v_exp_f32_e32 v134, v134
	v_cvt_i32_f32_e32 v135, v136
	v_cmp_nlt_f32_e32 vcc, s16, v128
	v_ldexp_f32 v132, v132, v133
	v_add_f32_e32 v107, v124, v125
	v_cndmask_b32_e32 v128, v105, v137, vcc
	v_cmp_ngt_f32_e32 vcc, s15, v129
	v_ldexp_f32 v133, v134, v135
	v_add_f32_e32 v107, v130, v107
	v_cndmask_b32_e32 v132, 0, v132, vcc
	v_cmp_ngt_f32_e32 vcc, s15, v70
	v_add_f32_e32 v107, v126, v107
	v_add_f32_e32 v107, v127, v107
	v_cndmask_b32_e32 v133, 0, v133, vcc
	v_cmp_nlt_f32_e32 vcc, s16, v70
	v_add_f32_e32 v107, v131, v107
	v_add_f32_e32 v107, v128, v107
	v_cndmask_b32_e32 v133, v105, v133, vcc
	v_cmp_le_f32_e32 vcc, s17, v70
	s_nop 1
	v_cndmask_b32_e32 v133, 0, v133, vcc
	v_cvt_f16_f32_e32 v134, v133
	v_cmp_nlt_f32_e32 vcc, s16, v129
	s_nop 1
	v_cndmask_b32_e32 v129, v105, v132, vcc
	v_add_f32_e32 v70, v129, v107
	v_fmac_f32_e32 v70, v106, v133
	v_mul_u32_u24_e32 v106, 0x10001, v134
	v_pk_mul_f16 v102, v102, v106
	v_pk_mul_f16 v101, v101, v106
	;; [unrolled: 1-line block ×14, first 2 shown]
	ds_read_u16 v52, v99
	ds_read_u16 v110, v99 offset:32
	ds_read_u16 v111, v99 offset:64
	;; [unrolled: 1-line block ×15, first 2 shown]
	v_pk_mul_f16 v98, v98, v106
	v_pk_mul_f16 v96, v96, v106
	v_cvt_f32_f16_e32 v108, v102
	v_cvt_f32_f16_sdwa v102, v102 dst_sel:DWORD dst_unused:UNUSED_PAD src0_sel:WORD_1
	v_cvt_f32_f16_e32 v109, v101
	v_cvt_f32_f16_sdwa v101, v101 dst_sel:DWORD dst_unused:UNUSED_PAD src0_sel:WORD_1
	s_waitcnt lgkmcnt(7)
	v_perm_b32 v107, v53, v52, s18
	ds_read_u16 v52, v95
	ds_read_u16 v134, v95 offset:32
	ds_read_u16 v135, v95 offset:64
	;; [unrolled: 1-line block ×15, first 2 shown]
	s_waitcnt lgkmcnt(7)
	v_perm_b32 v106, v53, v52, s18
	v_cvt_pk_f16_f32 v53, v130, v126
	v_cvt_pk_f16_f32 v52, v124, v125
	v_accvgpr_write_b32 a0, v108
	v_accvgpr_write_b32 a1, v102
	;; [unrolled: 1-line block ×4, first 2 shown]
	v_cvt_pk_f16_f32 v109, v128, v129
	v_cvt_f32_f16_e32 v128, v96
	v_mfma_f32_16x16x16_f16 a[0:3], v[106:107], v[52:53], a[0:3]
	v_cvt_f32_f16_sdwa v96, v96 dst_sel:DWORD dst_unused:UNUSED_PAD src0_sel:WORD_1
	v_cvt_f32_f16_sdwa v129, v133 dst_sel:DWORD dst_unused:UNUSED_PAD src0_sel:WORD_1
	v_cmp_lt_i32_e32 vcc, s76, v69
	s_and_b64 vcc, exec, vcc
	s_nop 3
	v_accvgpr_read_b32 v106, a2
	v_accvgpr_read_b32 v107, a3
	v_cvt_f16_f32_e32 v106, v106
	v_cvt_f16_f32_e32 v107, v107
	v_accvgpr_read_b32 v101, a0
	v_accvgpr_read_b32 v102, a1
	v_cvt_f16_f32_e32 v101, v101
	v_cvt_f16_f32_e32 v102, v102
	v_cvt_f32_f16_e32 v124, v106
	v_cvt_f32_f16_e32 v125, v107
	ds_read_u16 v106, v99 offset:8704
	ds_read_u16 v126, v99 offset:8736
	;; [unrolled: 1-line block ×16, first 2 shown]
	s_waitcnt lgkmcnt(7)
	v_perm_b32 v107, v107, v106, s18
	ds_read_u16 v106, v95 offset:8704
	ds_read_u16 v160, v95 offset:8736
	;; [unrolled: 1-line block ×16, first 2 shown]
	v_cvt_f32_f16_e32 v101, v101
	v_cvt_f32_f16_e32 v102, v102
	s_waitcnt lgkmcnt(7)
	v_perm_b32 v106, v108, v106, s18
	v_cvt_pk_f16_f32 v108, v127, v131
	v_accvgpr_write_b32 a0, v101
	v_accvgpr_write_b32 a1, v102
	;; [unrolled: 1-line block ×4, first 2 shown]
	v_cvt_f32_f16_e32 v127, v98
	v_cvt_f32_f16_sdwa v98, v98 dst_sel:DWORD dst_unused:UNUSED_PAD src0_sel:WORD_1
	v_mfma_f32_16x16x16_f16 a[0:3], v[106:107], v[108:109], a[0:3]
	v_perm_b32 v107, v117, v110, s18
	v_perm_b32 v106, v141, v134, s18
	s_waitcnt lgkmcnt(0)
	s_barrier
	s_nop 3
	v_accvgpr_read_b32 v101, a0
	v_accvgpr_read_b32 v102, a1
	;; [unrolled: 1-line block ×4, first 2 shown]
	v_accvgpr_write_b32 a0, v127
	v_accvgpr_write_b32 a1, v98
	v_accvgpr_write_b32 a2, v128
	v_accvgpr_write_b32 a3, v96
	v_cvt_f32_f16_sdwa v127, v132 dst_sel:DWORD dst_unused:UNUSED_PAD src0_sel:WORD_1
	v_cvt_f32_f16_e32 v128, v133
	v_mfma_f32_16x16x16_f16 a[0:3], v[106:107], v[52:53], a[0:3]
	v_cvt_pk_f16_f32 v102, v101, v102
	v_cvt_pk_f16_f32 v101, v124, v125
	s_nop 5
	v_accvgpr_read_b32 v96, a0
	v_accvgpr_read_b32 v98, a1
	;; [unrolled: 1-line block ×4, first 2 shown]
	v_cvt_f16_f32_e32 v96, v96
	v_cvt_f16_f32_e32 v98, v98
	;; [unrolled: 1-line block ×4, first 2 shown]
	v_cvt_f32_f16_e32 v96, v96
	v_cvt_f32_f16_e32 v98, v98
	;; [unrolled: 1-line block ×4, first 2 shown]
	v_perm_b32 v107, v153, v126, s18
	v_perm_b32 v106, v167, v160, s18
	v_accvgpr_write_b32 a0, v96
	v_accvgpr_write_b32 a1, v98
	;; [unrolled: 1-line block ×4, first 2 shown]
	v_cvt_f32_f16_e32 v126, v132
	s_nop 0
	v_mfma_f32_16x16x16_f16 a[0:3], v[106:107], v[108:109], a[0:3]
	v_perm_b32 v107, v118, v111, s18
	v_perm_b32 v106, v142, v135, s18
	s_nop 5
	v_accvgpr_read_b32 v96, a0
	v_accvgpr_read_b32 v98, a1
	;; [unrolled: 1-line block ×4, first 2 shown]
	v_accvgpr_write_b32 a0, v126
	v_accvgpr_write_b32 a1, v127
	;; [unrolled: 1-line block ×4, first 2 shown]
	v_cvt_f32_f16_e32 v128, v94
	v_cvt_f32_f16_sdwa v94, v94 dst_sel:DWORD dst_unused:UNUSED_PAD src0_sel:WORD_1
	v_mfma_f32_16x16x16_f16 a[0:3], v[106:107], v[52:53], a[0:3]
	v_cvt_f32_f16_e32 v129, v93
	v_cvt_f32_f16_sdwa v93, v93 dst_sel:DWORD dst_unused:UNUSED_PAD src0_sel:WORD_1
	v_cvt_pk_f16_f32 v98, v96, v98
	v_cvt_pk_f16_f32 v96, v110, v117
	s_nop 3
	v_accvgpr_read_b32 v106, a0
	v_accvgpr_read_b32 v107, a1
	;; [unrolled: 1-line block ×4, first 2 shown]
	v_cvt_f16_f32_e32 v106, v106
	v_cvt_f16_f32_e32 v107, v107
	v_cvt_f16_f32_e32 v111, v111
	v_cvt_f16_f32_e32 v118, v118
	v_cvt_f32_f16_e32 v126, v106
	v_cvt_f32_f16_e32 v127, v107
	;; [unrolled: 1-line block ×4, first 2 shown]
	v_perm_b32 v107, v154, v130, s18
	v_perm_b32 v106, v168, v161, s18
	v_accvgpr_write_b32 a0, v126
	v_accvgpr_write_b32 a1, v127
	;; [unrolled: 1-line block ×4, first 2 shown]
	s_nop 1
	v_mfma_f32_16x16x16_f16 a[0:3], v[106:107], v[108:109], a[0:3]
	v_perm_b32 v107, v119, v112, s18
	v_perm_b32 v106, v143, v136, s18
	s_nop 5
	v_accvgpr_read_b32 v111, a0
	v_accvgpr_read_b32 v118, a1
	v_accvgpr_read_b32 v126, a2
	v_accvgpr_read_b32 v127, a3
	v_accvgpr_write_b32 a0, v128
	v_accvgpr_write_b32 a1, v94
	v_accvgpr_write_b32 a2, v129
	v_accvgpr_write_b32 a3, v93
	v_cvt_f32_f16_sdwa v128, v92 dst_sel:DWORD dst_unused:UNUSED_PAD src0_sel:WORD_1
	v_cvt_f32_f16_e32 v129, v91
	v_mfma_f32_16x16x16_f16 a[0:3], v[106:107], v[52:53], a[0:3]
	v_cvt_f32_f16_sdwa v91, v91 dst_sel:DWORD dst_unused:UNUSED_PAD src0_sel:WORD_1
	s_nop 6
	v_accvgpr_read_b32 v93, a0
	v_accvgpr_read_b32 v94, a1
	v_accvgpr_read_b32 v106, a2
	v_accvgpr_read_b32 v107, a3
	v_cvt_f16_f32_e32 v93, v93
	v_cvt_f16_f32_e32 v94, v94
	v_cvt_f16_f32_e32 v106, v106
	v_cvt_f16_f32_e32 v107, v107
	v_cvt_f32_f16_e32 v93, v93
	v_cvt_f32_f16_e32 v94, v94
	v_cvt_f32_f16_e32 v112, v106
	v_cvt_f32_f16_e32 v119, v107
	v_perm_b32 v107, v155, v148, s18
	v_perm_b32 v106, v169, v162, s18
	v_accvgpr_write_b32 a0, v93
	v_accvgpr_write_b32 a1, v94
	v_accvgpr_write_b32 a2, v112
	v_accvgpr_write_b32 a3, v119
	v_cvt_f32_f16_e32 v119, v92
	v_perm_b32 v93, v120, v113, s18
	v_mfma_f32_16x16x16_f16 a[0:3], v[106:107], v[108:109], a[0:3]
	v_perm_b32 v92, v144, v137, s18
	s_nop 6
	v_accvgpr_read_b32 v94, a0
	v_accvgpr_read_b32 v106, a1
	v_accvgpr_read_b32 v107, a2
	v_accvgpr_read_b32 v112, a3
	v_accvgpr_write_b32 a0, v119
	v_accvgpr_write_b32 a1, v128
	v_accvgpr_write_b32 a2, v129
	v_accvgpr_write_b32 a3, v91
	v_cvt_f32_f16_sdwa v128, v90 dst_sel:DWORD dst_unused:UNUSED_PAD src0_sel:WORD_1
	v_cvt_f32_f16_e32 v129, v89
	v_mfma_f32_16x16x16_f16 a[0:3], v[92:93], v[52:53], a[0:3]
	v_cvt_f32_f16_sdwa v89, v89 dst_sel:DWORD dst_unused:UNUSED_PAD src0_sel:WORD_1
	s_nop 6
	v_accvgpr_read_b32 v91, a0
	v_accvgpr_read_b32 v92, a1
	v_accvgpr_read_b32 v93, a2
	v_accvgpr_read_b32 v113, a3
	v_cvt_f16_f32_e32 v91, v91
	v_cvt_f16_f32_e32 v92, v92
	v_cvt_f16_f32_e32 v93, v93
	v_cvt_f16_f32_e32 v113, v113
	v_cvt_f32_f16_e32 v91, v91
	v_cvt_f32_f16_e32 v119, v92
	v_cvt_f32_f16_e32 v120, v93
	v_cvt_f32_f16_e32 v113, v113
	v_perm_b32 v93, v156, v149, s18
	v_perm_b32 v92, v170, v163, s18
	v_accvgpr_write_b32 a0, v91
	v_accvgpr_write_b32 a1, v119
	v_accvgpr_write_b32 a2, v120
	v_accvgpr_write_b32 a3, v113
	v_cvt_f32_f16_e32 v120, v90
	v_perm_b32 v91, v121, v114, s18
	v_mfma_f32_16x16x16_f16 a[0:3], v[92:93], v[108:109], a[0:3]
	;; [unrolled: 36-line block ×3, first 2 shown]
	v_perm_b32 v88, v146, v139, s18
	s_nop 6
	v_accvgpr_read_b32 v90, a0
	v_accvgpr_read_b32 v91, a1
	v_accvgpr_read_b32 v114, a2
	v_accvgpr_read_b32 v120, a3
	v_accvgpr_write_b32 a0, v121
	v_accvgpr_write_b32 a1, v128
	;; [unrolled: 1-line block ×4, first 2 shown]
	v_cvt_f32_f16_e32 v128, v85
	v_cvt_f32_f16_sdwa v85, v85 dst_sel:DWORD dst_unused:UNUSED_PAD src0_sel:WORD_1
	v_mfma_f32_16x16x16_f16 a[0:3], v[88:89], v[52:53], a[0:3]
	v_cvt_f32_f16_e32 v129, v83
	v_cvt_f32_f16_sdwa v83, v83 dst_sel:DWORD dst_unused:UNUSED_PAD src0_sel:WORD_1
	s_nop 5
	v_accvgpr_read_b32 v87, a0
	v_accvgpr_read_b32 v88, a1
	;; [unrolled: 1-line block ×4, first 2 shown]
	v_cvt_f16_f32_e32 v87, v87
	v_cvt_f16_f32_e32 v88, v88
	;; [unrolled: 1-line block ×4, first 2 shown]
	v_cvt_f32_f16_e32 v87, v87
	v_cvt_f32_f16_e32 v121, v88
	;; [unrolled: 1-line block ×4, first 2 shown]
	v_perm_b32 v89, v158, v151, s18
	v_perm_b32 v88, v172, v165, s18
	v_accvgpr_write_b32 a0, v87
	v_accvgpr_write_b32 a1, v121
	;; [unrolled: 1-line block ×4, first 2 shown]
	s_nop 1
	v_mfma_f32_16x16x16_f16 a[0:3], v[88:89], v[108:109], a[0:3]
	v_perm_b32 v89, v123, v116, s18
	v_perm_b32 v88, v147, v140, s18
	s_nop 5
	v_accvgpr_read_b32 v87, a0
	v_accvgpr_read_b32 v115, a1
	;; [unrolled: 1-line block ×4, first 2 shown]
	v_accvgpr_write_b32 a0, v128
	v_accvgpr_write_b32 a1, v85
	;; [unrolled: 1-line block ×4, first 2 shown]
	s_nop 1
	v_mfma_f32_16x16x16_f16 a[0:3], v[88:89], v[52:53], a[0:3]
	s_nop 7
	v_accvgpr_read_b32 v52, a0
	v_accvgpr_read_b32 v53, a1
	;; [unrolled: 1-line block ×4, first 2 shown]
	v_cvt_f16_f32_e32 v52, v52
	v_cvt_f16_f32_e32 v53, v53
	v_cvt_f16_f32_e32 v83, v83
	v_cvt_f16_f32_e32 v85, v85
	v_cvt_f32_f16_e32 v88, v52
	v_cvt_f32_f16_e32 v89, v53
	;; [unrolled: 1-line block ×4, first 2 shown]
	v_perm_b32 v53, v159, v152, s18
	v_perm_b32 v52, v173, v166, s18
	v_accvgpr_write_b32 a0, v88
	v_accvgpr_write_b32 a1, v89
	;; [unrolled: 1-line block ×4, first 2 shown]
	v_cvt_pk_f16_f32 v88, v90, v91
	v_cvt_pk_f16_f32 v90, v92, v93
	v_mfma_f32_16x16x16_f16 a[0:3], v[52:53], v[108:109], a[0:3]
	v_cvt_pk_f16_f32 v89, v113, v119
	v_cvt_pk_f16_f32 v92, v94, v106
	;; [unrolled: 1-line block ×5, first 2 shown]
	s_nop 2
	v_accvgpr_read_b32 v52, a0
	v_accvgpr_read_b32 v53, a1
	;; [unrolled: 1-line block ×4, first 2 shown]
	v_cvt_pk_f16_f32 v53, v52, v53
	v_cvt_pk_f16_f32 v52, v83, v85
	;; [unrolled: 1-line block ×5, first 2 shown]
	s_cbranch_vccz .LBB0_366
; %bb.362:                              ;   in Loop: Header=BB0_361 Depth=1
	v_mov_b32_e32 v106, v70
	v_mov_b32_e32 v70, v51
	s_ashr_i32 s7, s6, 31
	s_and_saveexec_b64 s[8:9], s[0:1]
	s_cbranch_execnz .LBB0_360
	s_branch .LBB0_361
.LBB0_363:
                                        ; implicit-def: $sgpr56_sgpr57
	s_load_dwordx2 s[54:55], s[0:1], 0x74
	v_cvt_f32_u32_e32 v1, s33
	s_branch .LBB0_2
.LBB0_364:
                                        ; implicit-def: $sgpr60_sgpr61
	s_load_dwordx2 s[44:45], s[0:1], 0x5c
	s_branch .LBB0_5
.LBB0_365:
	v_mov_b32_e32 v51, 0xfeffffff
	v_mov_b32_e32 v70, 0
	;; [unrolled: 1-line block ×18, first 2 shown]
.LBB0_366:
	s_lshl_b32 s0, s76, 6
	s_ashr_i32 s1, s0, 31
	v_cmp_gt_u32_e32 vcc, 2, v25
	s_and_saveexec_b64 s[6:7], vcc
	s_cbranch_execz .LBB0_368
; %bb.367:
	v_add_u32_e32 v27, s10, v71
	v_lshl_or_b32 v27, v27, 1, v64
	v_mul_hi_u32 v28, s44, v27
	v_add_u32_e32 v28, v27, v28
	v_lshrrev_b32_e32 v28, s45, v28
	s_lshl_b64 s[8:9], s[0:1], 1
	v_mul_lo_u32 v28, v28, s36
	s_add_u32 s4, s4, s8
	v_sub_u32_e32 v27, v27, v28
	s_addc_u32 s5, s5, s9
	v_lshlrev_b32_e32 v28, 2, v54
	v_mad_i64_i32 v[30:31], s[8:9], v27, s46, 0
	v_and_b32_e32 v28, 0x7c, v28
	v_lshl_add_u64 v[30:31], v[30:31], 1, s[4:5]
	v_mov_b32_e32 v29, 0
	v_lshl_add_u64 v[30:31], v[30:31], 0, v[28:29]
	global_load_dword v27, v[30:31], off
	v_mul_u32_u24_e32 v25, 0x90, v25
	v_add3_u32 v25, 0, v25, v28
	s_waitcnt vmcnt(0)
	ds_write_b32 v25, v27 offset:17408
.LBB0_368:
	s_or_b64 exec, exec, s[6:7]
	s_mul_hi_i32 s5, s0, s38
	s_mul_i32 s4, s0, s38
	s_lshl_b64 s[4:5], s[4:5], 2
	s_add_u32 s4, s12, s4
	s_addc_u32 s5, s13, s5
	v_mul_lo_u32 v28, s38, v67
	v_ashrrev_i32_e32 v27, 31, v26
	v_lshlrev_b32_e32 v25, 4, v54
	v_ashrrev_i32_e32 v29, 31, v28
	v_lshl_add_u64 v[26:27], v[26:27], 2, s[4:5]
	v_and_b32_e32 v34, 0x70, v25
	v_mov_b32_e32 v35, 0
	v_lshl_add_u64 v[36:37], v[26:27], 0, v[34:35]
	v_lshl_add_u64 v[26:27], v[28:29], 2, s[4:5]
	;; [unrolled: 1-line block ×3, first 2 shown]
	global_load_dwordx4 v[26:29], v[36:37], off offset:256
	global_load_dwordx4 v[30:33], v[38:39], off offset:256
	v_and_b32_e32 v48, 16, v73
	s_movk_i32 s6, 0x110
	v_mul_u32_u24_e32 v37, 0x110, v66
	v_mad_u32_u24 v38, v58, s6, 0
	v_mul_u32_u24_e32 v39, 0x110, v48
	v_mul_u32_u24_e32 v25, 0x110, v67
	v_add3_u32 v37, 0, v37, v34
	v_add3_u32 v50, v38, v59, v39
	;; [unrolled: 1-line block ×3, first 2 shown]
	v_lshl_add_u32 v49, v71, 2, v68
	v_mul_lo_u32 v36, s38, v49
	v_add_u32_e32 v64, 0x2000, v50
	s_lshl_b32 s1, s38, 4
	v_add_u32_e32 v34, s1, v36
	v_add_u32_e32 v38, s1, v34
	v_ashrrev_i32_e32 v39, 31, v38
	s_mul_hi_i32 s9, s0, s34
	s_mul_i32 s8, s0, s34
	s_lshl_b64 s[8:9], s[8:9], 2
	s_add_u32 s8, s3, s8
	s_addc_u32 s9, s11, s9
	s_lshl_b32 s0, s34, 4
	s_waitcnt vmcnt(1)
	ds_write_b128 v37, v[26:29]
	s_waitcnt vmcnt(0)
	ds_write_b128 v25, v[30:33]
	s_waitcnt lgkmcnt(0)
	s_barrier
	ds_read2_b64 v[26:29], v50 offset1:4
	v_ashrrev_i32_e32 v37, 31, v36
	ds_read2_b64 v[30:33], v64 offset0:64 offset1:68
	v_mov_b32_e32 v25, v35
	v_lshl_add_u64 v[36:37], v[36:37], 2, s[4:5]
	v_ashrrev_i32_e32 v35, 31, v34
	s_waitcnt lgkmcnt(1)
	v_mfma_f32_16x16x16_f16 a[0:3], v[26:27], v[20:21], 0
	v_lshl_add_u64 v[40:41], v[36:37], 0, v[24:25]
	v_lshl_add_u64 v[26:27], v[34:35], 2, s[4:5]
	ds_read2_b64 v[34:37], v50 offset0:8 offset1:12
	v_mfma_f32_16x16x16_f16 a[0:3], v[28:29], v[22:23], a[0:3]
	v_lshl_add_u64 v[42:43], v[26:27], 0, v[24:25]
	ds_read2_b64 v[26:29], v64 offset0:72 offset1:76
	s_waitcnt lgkmcnt(0)
	v_mfma_f32_16x16x16_f16 a[4:7], v[30:31], v[20:21], 0
	v_add_u32_e32 v20, s1, v38
	v_ashrrev_i32_e32 v21, 31, v20
	v_lshl_add_u64 v[20:21], v[20:21], 2, s[4:5]
	v_mfma_f32_16x16x16_f16 a[0:3], v[34:35], v[16:17], a[0:3]
	v_lshl_add_u64 v[46:47], v[20:21], 0, v[24:25]
	s_barrier
	v_mfma_f32_16x16x16_f16 a[4:7], v[32:33], v[22:23], a[4:7]
	v_lshl_add_u64 v[22:23], v[38:39], 2, s[4:5]
	v_lshl_add_u64 v[44:45], v[22:23], 0, v[24:25]
	global_load_dwordx4 v[20:23], v[40:41], off
	global_load_dwordx4 v[30:33], v[42:43], off
	v_mfma_f32_16x16x16_f16 a[0:3], v[36:37], v[18:19], a[0:3]
	global_load_dwordx4 v[34:37], v[44:45], off
	global_load_dwordx4 v[38:41], v[46:47], off
	s_movk_i32 s1, 0x90
	s_movk_i32 s4, 0x4400
	v_mfma_f32_16x16x16_f16 a[4:7], v[26:27], v[16:17], a[4:7]
	v_mul_u32_u24_e32 v16, 0x110, v49
	v_add3_u32 v16, 0, v16, v24
	v_and_b32_e32 v17, 0xfc, v65
	v_mfma_f32_16x16x16_f16 a[4:7], v[28:29], v[18:19], a[4:7]
	s_mov_b32 s5, 0xc2ce8ed0
	v_mul_u32_u24_e32 v46, 0x110, v63
	v_mul_u32_u24_e32 v45, 0x110, v60
	s_waitcnt vmcnt(3)
	ds_write_b128 v16, v[20:23]
	s_waitcnt vmcnt(2)
	ds_write_b128 v16, v[30:33] offset:4352
	s_waitcnt vmcnt(1)
	ds_write_b128 v16, v[34:37] offset:8704
	;; [unrolled: 2-line block ×3, first 2 shown]
	s_waitcnt lgkmcnt(0)
	s_barrier
	ds_read2_b64 v[18:21], v50 offset1:4
	ds_read2_b64 v[26:29], v64 offset0:64 offset1:68
	s_waitcnt lgkmcnt(1)
	v_mfma_f32_16x16x16_f16 a[0:3], v[18:19], v[12:13], a[0:3]
	v_mbcnt_hi_u32_b32 v22, -1, v198
	v_add_u32_e32 v23, v17, v48
	v_mov_b32_e32 v35, 0x7f800000
	v_mfma_f32_16x16x16_f16 a[0:3], v[20:21], v[14:15], a[0:3]
	ds_read2_b64 v[18:21], v50 offset0:8 offset1:12
	s_waitcnt lgkmcnt(1)
	v_mfma_f32_16x16x16_f16 a[4:7], v[26:27], v[12:13], a[4:7]
	v_mfma_f32_16x16x16_f16 a[4:7], v[28:29], v[14:15], a[4:7]
	ds_read2_b64 v[12:15], v64 offset0:72 offset1:76
	ds_read2_b64 v[26:29], v50 offset0:16 offset1:20
	s_waitcnt lgkmcnt(2)
	v_mfma_f32_16x16x16_f16 a[0:3], v[18:19], v[8:9], a[0:3]
	v_mfma_f32_16x16x16_f16 a[0:3], v[20:21], v[10:11], a[0:3]
	ds_read2_b64 v[18:21], v64 offset0:80 offset1:84
	s_waitcnt lgkmcnt(2)
	v_mfma_f32_16x16x16_f16 a[4:7], v[12:13], v[8:9], a[4:7]
	v_add_u16_e32 v9, v17, v48
	v_mad_u32_u24 v8, v56, s1, 0
	v_lshrrev_b16_e32 v9, 1, v9
	v_mfma_f32_16x16x16_f16 a[4:7], v[14:15], v[10:11], a[4:7]
	v_and_b32_e32 v12, 64, v22
	v_lshl_add_u32 v10, v23, 1, v8
	v_lshlrev_b32_e32 v9, 2, v9
	s_waitcnt lgkmcnt(1)
	v_mfma_f32_16x16x16_f16 a[0:3], v[26:27], v[4:5], a[0:3]
	v_add_u32_e32 v23, 64, v12
	v_add_u32_e32 v26, 0x4400, v10
	v_add3_u32 v27, v8, v9, s4
	s_waitcnt lgkmcnt(0)
	v_mfma_f32_16x16x16_f16 a[4:7], v[18:19], v[4:5], a[4:7]
	ds_read2_b64 v[8:11], v50 offset0:24 offset1:28
	ds_read2_b64 v[12:15], v64 offset0:88 offset1:92
	s_waitcnt lgkmcnt(0)
	s_barrier
	v_mfma_f32_16x16x16_f16 a[0:3], v[28:29], v[6:7], a[0:3]
	ds_read2_b32 v[18:19], v27 offset1:1
	v_xor_b32_e32 v17, 32, v22
	v_mfma_f32_16x16x16_f16 a[4:7], v[20:21], v[6:7], a[4:7]
	ds_read2_b32 v[6:7], v26 offset0:16 offset1:17
	v_cmp_lt_i32_e32 vcc, v17, v23
	s_waitcnt lgkmcnt(1)
	v_cvt_f32_f16_e32 v5, v18
	v_mfma_f32_16x16x16_f16 a[0:3], v[8:9], v[0:1], a[0:3]
	v_cvt_f32_f16_sdwa v8, v18 dst_sel:DWORD dst_unused:UNUSED_PAD src0_sel:WORD_1
	s_waitcnt lgkmcnt(0)
	v_cvt_f32_f16_e32 v9, v6
	v_cvt_f32_f16_sdwa v6, v6 dst_sel:DWORD dst_unused:UNUSED_PAD src0_sel:WORD_1
	v_mfma_f32_16x16x16_f16 a[4:7], v[12:13], v[0:1], a[4:7]
	v_cvt_f32_f16_e32 v0, v19
	v_cvt_f32_f16_sdwa v1, v19 dst_sel:DWORD dst_unused:UNUSED_PAD src0_sel:WORD_1
	v_cndmask_b32_e32 v4, v22, v17, vcc
	v_mfma_f32_16x16x16_f16 a[0:3], v[10:11], v[2:3], a[0:3]
	v_cvt_f32_f16_e32 v10, v7
	v_cvt_f32_f16_sdwa v7, v7 dst_sel:DWORD dst_unused:UNUSED_PAD src0_sel:WORD_1
	v_lshlrev_b32_e32 v4, 2, v4
	v_mfma_f32_16x16x16_f16 a[4:7], v[14:15], v[2:3], a[4:7]
	s_mov_b32 s4, 0x3fb8aa3b
	s_mov_b32 s1, 0x42b17218
	s_nop 1
	v_accvgpr_read_b32 v2, a0
	v_accvgpr_read_b32 v3, a1
	;; [unrolled: 1-line block ×4, first 2 shown]
	v_add_f32_e32 v5, v2, v5
	v_add_f32_e32 v8, v3, v8
	v_accvgpr_read_b32 v13, a4
	v_accvgpr_read_b32 v14, a5
	;; [unrolled: 1-line block ×4, first 2 shown]
	v_add_f32_e32 v0, v11, v0
	v_add_f32_e32 v1, v12, v1
	v_add_f32_e32 v2, 0x40051340, v5
	v_add_f32_e32 v3, 0x40051340, v8
	v_add_f32_e32 v9, v13, v9
	v_add_f32_e32 v6, v14, v6
	v_add_f32_e32 v34, v15, v10
	v_add_f32_e32 v17, v17, v7
	v_add_f32_e32 v7, 0x40051340, v0
	v_add_f32_e32 v10, 0x40051340, v1
	v_max3_f32 v2, v51, v2, v3
	v_add_f32_e32 v11, 0x40051340, v9
	v_add_f32_e32 v12, 0x40051340, v6
	v_max3_f32 v2, v2, v7, v10
	v_add_f32_e32 v13, 0x40051340, v34
	v_add_f32_e32 v14, 0x40051340, v17
	v_max3_f32 v2, v2, v11, v12
	v_max3_f32 v2, v2, v13, v14
	ds_bpermute_b32 v7, v4, v2
	v_xor_b32_e32 v3, 16, v22
	v_cmp_lt_i32_e32 vcc, v3, v23
	s_waitcnt lgkmcnt(0)
	v_max_f32_e32 v7, v7, v7
	v_cndmask_b32_e32 v3, v22, v3, vcc
	v_lshlrev_b32_e32 v3, 2, v3
	v_max_f32_e32 v2, v2, v7
	ds_bpermute_b32 v7, v3, v2
	s_waitcnt lgkmcnt(0)
	v_max_f32_e32 v7, v7, v7
	v_max_f32_e32 v2, v2, v7
	v_sub_f32_e32 v5, v5, v2
	v_sub_f32_e32 v7, v8, v2
	v_sub_f32_e32 v8, v0, v2
	v_mul_f32_e32 v0, 0x3fb8aa3b, v5
	v_sub_f32_e32 v11, v1, v2
	v_mul_f32_e32 v1, 0x3fb8aa3b, v7
	v_fma_f32 v13, v5, s4, -v0
	v_rndne_f32_e32 v14, v0
	v_sub_f32_e32 v36, v9, v2
	v_mul_f32_e32 v9, 0x3fb8aa3b, v8
	v_fma_f32 v15, v7, s4, -v1
	v_rndne_f32_e32 v18, v1
	v_fmac_f32_e32 v13, 0x32a5705f, v5
	v_sub_f32_e32 v0, v0, v14
	v_mul_f32_e32 v10, 0x3fb8aa3b, v11
	v_fma_f32 v19, v8, s4, -v9
	v_rndne_f32_e32 v20, v9
	v_fmac_f32_e32 v15, 0x32a5705f, v7
	v_sub_f32_e32 v1, v1, v18
	v_add_f32_e32 v0, v0, v13
	v_fma_f32 v21, v11, s4, -v10
	v_rndne_f32_e32 v22, v10
	v_cvt_i32_f32_e32 v14, v14
	v_fmac_f32_e32 v19, 0x32a5705f, v8
	v_sub_f32_e32 v9, v9, v20
	v_add_f32_e32 v1, v1, v15
	v_exp_f32_e32 v0, v0
	v_cvt_i32_f32_e32 v18, v18
	v_fmac_f32_e32 v21, 0x32a5705f, v11
	v_sub_f32_e32 v10, v10, v22
	v_add_f32_e32 v9, v9, v19
	v_exp_f32_e32 v1, v1
	v_cvt_i32_f32_e32 v20, v20
	v_add_f32_e32 v10, v10, v21
	v_exp_f32_e32 v9, v9
	v_cvt_i32_f32_e32 v22, v22
	v_exp_f32_e32 v10, v10
	v_mul_f32_e32 v12, 0x3fb8aa3b, v36
	v_ldexp_f32 v0, v0, v14
	v_cmp_ngt_f32_e32 vcc, s5, v5
	v_fma_f32 v23, v36, s4, -v12
	v_rndne_f32_e32 v26, v12
	v_ldexp_f32 v1, v1, v18
	v_cndmask_b32_e32 v0, 0, v0, vcc
	v_cmp_ngt_f32_e32 vcc, s5, v7
	v_fmac_f32_e32 v23, 0x32a5705f, v36
	v_sub_f32_e32 v12, v12, v26
	v_ldexp_f32 v9, v9, v20
	v_cndmask_b32_e32 v1, 0, v1, vcc
	v_cmp_ngt_f32_e32 vcc, s5, v8
	v_add_f32_e32 v12, v12, v23
	v_ldexp_f32 v10, v10, v22
	v_cndmask_b32_e32 v9, 0, v9, vcc
	v_cmp_ngt_f32_e32 vcc, s5, v11
	v_cvt_i32_f32_e32 v26, v26
	v_exp_f32_e32 v12, v12
	v_cndmask_b32_e32 v13, 0, v10, vcc
	v_cmp_nlt_f32_e32 vcc, s1, v5
	v_sub_f32_e32 v38, v6, v2
	v_mul_f32_e32 v6, 0x3fb8aa3b, v38
	v_cndmask_b32_e32 v0, v35, v0, vcc
	v_cmp_nlt_f32_e32 vcc, s1, v7
	v_ldexp_f32 v7, v12, v26
	s_nop 0
	v_cndmask_b32_e32 v10, v35, v1, vcc
	v_cmp_nlt_f32_e32 vcc, s1, v8
	v_rndne_f32_e32 v8, v6
	v_cvt_i32_f32_e32 v40, v8
	v_cndmask_b32_e32 v1, v35, v9, vcc
	v_cmp_nlt_f32_e32 vcc, s1, v11
	v_add_f32_e32 v5, v0, v10
	v_add_f32_e32 v5, v1, v5
	v_cndmask_b32_e32 v11, v35, v13, vcc
	v_cmp_ngt_f32_e32 vcc, s5, v36
	v_add_f32_e32 v5, v11, v5
	v_cvt_pk_f16_f32 v1, v1, v11
	v_cndmask_b32_e32 v37, 0, v7, vcc
	v_fma_f32 v7, v38, s4, -v6
	v_fmac_f32_e32 v7, 0x32a5705f, v38
	v_sub_f32_e32 v6, v6, v8
	v_add_f32_e32 v6, v6, v7
	v_exp_f32_e32 v39, v6
	v_mul_lo_u32 v6, s34, v49
	v_ashrrev_i32_e32 v7, 31, v6
	v_lshl_add_u64 v[8:9], v[6:7], 2, s[8:9]
	v_add_u32_e32 v6, s0, v6
	v_ashrrev_i32_e32 v7, 31, v6
	v_lshl_add_u64 v[12:13], v[6:7], 2, s[8:9]
	v_add_u32_e32 v6, s0, v6
	;; [unrolled: 3-line block ×3, first 2 shown]
	v_ashrrev_i32_e32 v7, 31, v6
	v_lshl_add_u64 v[8:9], v[8:9], 0, v[24:25]
	v_lshl_add_u64 v[6:7], v[6:7], 2, s[8:9]
	v_lshl_add_u64 v[12:13], v[12:13], 0, v[24:25]
	v_lshl_add_u64 v[14:15], v[14:15], 0, v[24:25]
	v_lshl_add_u64 v[6:7], v[6:7], 0, v[24:25]
	global_load_dwordx4 v[18:21], v[8:9], off
	global_load_dwordx4 v[22:25], v[12:13], off
	;; [unrolled: 1-line block ×4, first 2 shown]
	v_sub_f32_e32 v7, v34, v2
	v_mul_f32_e32 v8, 0x3fb8aa3b, v7
	v_fma_f32 v9, v7, s4, -v8
	v_rndne_f32_e32 v12, v8
	v_fmac_f32_e32 v9, 0x32a5705f, v7
	v_sub_f32_e32 v8, v8, v12
	v_add_f32_e32 v8, v8, v9
	v_exp_f32_e32 v8, v8
	v_cvt_i32_f32_e32 v9, v12
	v_cmp_nlt_f32_e32 vcc, s1, v36
	v_ldexp_f32 v6, v39, v40
	s_mov_b32 s0, 0xc1a00000
	v_cndmask_b32_e32 v36, v35, v37, vcc
	v_cmp_ngt_f32_e32 vcc, s5, v38
	v_add_f32_e32 v5, v36, v5
	s_waitcnt vmcnt(3)
	ds_write_b128 v16, v[18:21]
	s_waitcnt vmcnt(2)
	ds_write_b128 v16, v[22:25] offset:4352
	s_waitcnt vmcnt(1)
	ds_write_b128 v16, v[26:29] offset:8704
	;; [unrolled: 2-line block ×3, first 2 shown]
	v_cndmask_b32_e32 v6, 0, v6, vcc
	v_cmp_nlt_f32_e32 vcc, s1, v38
	v_lshlrev_b32_e32 v21, 1, v46
	v_lshlrev_b32_e32 v18, 1, v45
	v_cndmask_b32_e32 v34, v35, v6, vcc
	v_ldexp_f32 v6, v8, v9
	v_cmp_ngt_f32_e32 vcc, s5, v7
	v_add_f32_e32 v5, v34, v5
	s_waitcnt lgkmcnt(0)
	v_cndmask_b32_e32 v6, 0, v6, vcc
	v_cmp_nlt_f32_e32 vcc, s1, v7
	s_barrier
	s_nop 0
	v_cndmask_b32_e32 v37, v35, v6, vcc
	v_sub_f32_e32 v6, v17, v2
	v_mul_f32_e32 v7, 0x3fb8aa3b, v6
	v_fma_f32 v8, v6, s4, -v7
	v_rndne_f32_e32 v9, v7
	v_fmac_f32_e32 v8, 0x32a5705f, v6
	v_sub_f32_e32 v7, v7, v9
	v_add_f32_e32 v7, v7, v8
	v_cvt_i32_f32_e32 v8, v9
	v_sub_f32_e32 v9, v51, v2
	v_mul_f32_e32 v12, 0x3fb8aa3b, v9
	v_fma_f32 v13, v9, s4, -v12
	v_rndne_f32_e32 v14, v12
	v_fmac_f32_e32 v13, 0x32a5705f, v9
	v_sub_f32_e32 v12, v12, v14
	v_exp_f32_e32 v7, v7
	v_add_f32_e32 v12, v12, v13
	v_exp_f32_e32 v12, v12
	v_cvt_i32_f32_e32 v13, v14
	v_ldexp_f32 v7, v7, v8
	v_cmp_ngt_f32_e32 vcc, s5, v6
	v_add_f32_e32 v5, v37, v5
	v_ldexp_f32 v8, v12, v13
	v_cndmask_b32_e32 v7, 0, v7, vcc
	v_cmp_ngt_f32_e32 vcc, s5, v9
	v_cvt_pk_f16_f32 v0, v0, v10
	s_nop 0
	v_cndmask_b32_e32 v8, 0, v8, vcc
	v_cmp_nlt_f32_e32 vcc, s1, v9
	s_nop 1
	v_cndmask_b32_e32 v8, v35, v8, vcc
	v_cmp_le_f32_e32 vcc, s0, v9
	s_movk_i32 s0, 0x220
	v_mad_u32_u24 v16, v62, s0, 0
	v_cndmask_b32_e32 v8, 0, v8, vcc
	v_cvt_f16_f32_e32 v9, v8
	v_cmp_nlt_f32_e32 vcc, s1, v6
	v_add_u32_e32 v20, v16, v61
	v_add3_u32 v22, v16, v21, v61
	v_mul_u32_u24_e32 v6, 0x10001, v9
	v_cndmask_b32_e32 v35, v35, v7, vcc
	v_pk_mul_f16 v17, v102, v6
	v_pk_mul_f16 v38, v101, v6
	v_add_f32_e32 v5, v35, v5
	v_add3_u32 v19, v16, v18, v61
	v_add_u32_e32 v18, v20, v18
	v_add_u32_e32 v20, v20, v21
	v_cvt_f32_f16_e32 v21, v17
	v_cvt_f32_f16_sdwa v23, v17 dst_sel:DWORD dst_unused:UNUSED_PAD src0_sel:WORD_1
	v_cvt_f32_f16_e32 v24, v38
	v_cvt_f32_f16_sdwa v25, v38 dst_sel:DWORD dst_unused:UNUSED_PAD src0_sel:WORD_1
	s_mov_b32 s0, 0x5040100
	ds_read_u16 v16, v22
	ds_read_u16 v26, v22 offset:32
	ds_read_u16 v27, v22 offset:64
	;; [unrolled: 1-line block ×15, first 2 shown]
	v_fmac_f32_e32 v5, v70, v8
	v_pk_mul_f16 v39, v98, v6
	v_pk_mul_f16 v40, v96, v6
	;; [unrolled: 1-line block ×14, first 2 shown]
	s_waitcnt lgkmcnt(7)
	v_perm_b32 v17, v17, v16, s0
	ds_read_u16 v16, v19
	ds_read_u16 v50, v19 offset:32
	ds_read_u16 v51, v19 offset:64
	;; [unrolled: 1-line block ×15, first 2 shown]
	s_waitcnt lgkmcnt(7)
	v_perm_b32 v16, v63, v16, s0
	v_accvgpr_write_b32 a0, v21
	v_accvgpr_write_b32 a1, v23
	;; [unrolled: 1-line block ×4, first 2 shown]
	ds_bpermute_b32 v4, v4, v5
	s_nop 0
	v_mfma_f32_16x16x16_f16 a[0:3], v[16:17], v[0:1], a[0:3]
	s_nop 7
	v_accvgpr_read_b32 v10, a0
	v_accvgpr_read_b32 v11, a1
	v_cvt_f16_f32_e32 v10, v10
	v_cvt_f16_f32_e32 v11, v11
	v_accvgpr_read_b32 v16, a2
	v_cvt_f16_f32_e32 v16, v16
	v_accvgpr_read_b32 v17, a3
	v_cvt_f16_f32_e32 v17, v17
	v_cvt_f32_f16_e32 v21, v10
	v_cvt_f32_f16_e32 v23, v11
	ds_read_u16 v10, v22 offset:8704
	ds_read_u16 v63, v22 offset:8736
	;; [unrolled: 1-line block ×16, first 2 shown]
	v_cvt_f32_f16_e32 v24, v16
	s_waitcnt lgkmcnt(7)
	v_perm_b32 v11, v11, v10, s0
	ds_read_u16 v10, v19 offset:8704
	ds_read_u16 v85, v19 offset:8736
	;; [unrolled: 1-line block ×16, first 2 shown]
	v_cvt_f32_f16_e32 v25, v17
	s_waitcnt lgkmcnt(7)
	v_perm_b32 v10, v16, v10, s0
	v_cvt_pk_f16_f32 v17, v37, v35
	v_cvt_pk_f16_f32 v16, v36, v34
	v_accvgpr_write_b32 a0, v21
	v_accvgpr_write_b32 a1, v23
	;; [unrolled: 1-line block ×4, first 2 shown]
	v_cvt_f32_f16_e32 v21, v39
	v_cvt_f32_f16_sdwa v23, v39 dst_sel:DWORD dst_unused:UNUSED_PAD src0_sel:WORD_1
	v_mfma_f32_16x16x16_f16 a[0:3], v[10:11], v[16:17], a[0:3]
	v_cvt_f32_f16_e32 v24, v40
	v_cvt_f32_f16_sdwa v25, v40 dst_sel:DWORD dst_unused:UNUSED_PAD src0_sel:WORD_1
	v_perm_b32 v11, v33, v26, s0
	v_perm_b32 v10, v64, v50, s0
	v_accvgpr_write_b32 a4, v21
	v_accvgpr_write_b32 a5, v23
	;; [unrolled: 1-line block ×4, first 2 shown]
	s_waitcnt lgkmcnt(0)
	s_barrier
	v_mfma_f32_16x16x16_f16 a[4:7], v[10:11], v[0:1], a[4:7]
	s_nop 7
	v_accvgpr_read_b32 v10, a4
	v_accvgpr_read_b32 v11, a5
	v_accvgpr_read_b32 v21, a6
	v_accvgpr_read_b32 v23, a7
	v_cvt_f16_f32_e32 v10, v10
	v_cvt_f16_f32_e32 v11, v11
	v_cvt_f16_f32_e32 v21, v21
	v_cvt_f16_f32_e32 v23, v23
	v_cvt_f32_f16_e32 v24, v10
	v_cvt_f32_f16_e32 v25, v11
	v_cvt_f32_f16_e32 v21, v21
	v_cvt_f32_f16_e32 v23, v23
	v_perm_b32 v11, v79, v63, s0
	v_perm_b32 v10, v91, v85, s0
	v_accvgpr_write_b32 a4, v24
	v_accvgpr_write_b32 a5, v25
	v_accvgpr_write_b32 a6, v21
	v_accvgpr_write_b32 a7, v23
	v_cvt_f32_f16_e32 v21, v41
	v_cvt_f32_f16_sdwa v23, v41 dst_sel:DWORD dst_unused:UNUSED_PAD src0_sel:WORD_1
	v_mfma_f32_16x16x16_f16 a[4:7], v[10:11], v[16:17], a[4:7]
	v_cvt_f32_f16_e32 v24, v42
	v_cvt_f32_f16_sdwa v25, v42 dst_sel:DWORD dst_unused:UNUSED_PAD src0_sel:WORD_1
	v_perm_b32 v11, v38, v27, s0
	v_perm_b32 v10, v65, v51, s0
	v_accvgpr_write_b32 a8, v21
	v_accvgpr_write_b32 a9, v23
	v_accvgpr_write_b32 a10, v24
	v_accvgpr_write_b32 a11, v25
	s_nop 1
	v_mfma_f32_16x16x16_f16 a[8:11], v[10:11], v[0:1], a[8:11]
	s_nop 7
	v_accvgpr_read_b32 v10, a8
	v_accvgpr_read_b32 v11, a9
	v_accvgpr_read_b32 v21, a10
	v_accvgpr_read_b32 v23, a11
	v_cvt_f16_f32_e32 v10, v10
	v_cvt_f16_f32_e32 v11, v11
	v_cvt_f16_f32_e32 v21, v21
	v_cvt_f16_f32_e32 v23, v23
	v_cvt_f32_f16_e32 v24, v10
	v_cvt_f32_f16_e32 v25, v11
	v_cvt_f32_f16_e32 v21, v21
	v_cvt_f32_f16_e32 v23, v23
	v_perm_b32 v11, v80, v72, s0
	v_perm_b32 v10, v92, v86, s0
	v_accvgpr_write_b32 a8, v24
	v_accvgpr_write_b32 a9, v25
	v_accvgpr_write_b32 a10, v21
	v_accvgpr_write_b32 a11, v23
	v_cvt_f32_f16_e32 v21, v43
	v_cvt_f32_f16_sdwa v23, v43 dst_sel:DWORD dst_unused:UNUSED_PAD src0_sel:WORD_1
	v_mfma_f32_16x16x16_f16 a[8:11], v[10:11], v[16:17], a[8:11]
	v_cvt_f32_f16_e32 v24, v44
	v_cvt_f32_f16_sdwa v25, v44 dst_sel:DWORD dst_unused:UNUSED_PAD src0_sel:WORD_1
	v_perm_b32 v11, v45, v28, s0
	v_perm_b32 v10, v66, v52, s0
	v_accvgpr_write_b32 a12, v21
	v_accvgpr_write_b32 a13, v23
	v_accvgpr_write_b32 a14, v24
	v_accvgpr_write_b32 a15, v25
	s_nop 1
	;; [unrolled: 32-line block ×6, first 2 shown]
	v_mfma_f32_16x16x16_f16 a[28:31], v[6:7], v[0:1], a[28:31]
	s_nop 7
	v_accvgpr_read_b32 v0, a28
	v_accvgpr_read_b32 v1, a29
	;; [unrolled: 1-line block ×4, first 2 shown]
	v_cvt_f16_f32_e32 v0, v0
	v_cvt_f16_f32_e32 v1, v1
	;; [unrolled: 1-line block ×4, first 2 shown]
	v_cvt_f32_f16_e32 v8, v0
	v_cvt_f32_f16_e32 v9, v1
	;; [unrolled: 1-line block ×4, first 2 shown]
	v_perm_b32 v1, v20, v22, s0
	v_perm_b32 v0, v18, v19, s0
	v_accvgpr_write_b32 a28, v8
	v_accvgpr_write_b32 a29, v9
	;; [unrolled: 1-line block ×4, first 2 shown]
	v_cmp_gt_u32_e64 s[0:1], 16, v54
	s_nop 0
	v_mfma_f32_16x16x16_f16 a[28:31], v[0:1], v[16:17], a[28:31]
	v_add_f32_e32 v0, v5, v4
	ds_bpermute_b32 v1, v3, v0
	s_and_saveexec_b64 s[4:5], s[0:1]
	s_cbranch_execz .LBB0_370
; %bb.369:
	s_waitcnt lgkmcnt(0)
	v_add_f32_e32 v0, v0, v1
	v_or_b32_e32 v1, v73, v54
	v_mad_u32_u24 v1, v1, s6, 0
	ds_write2_b32 v1, v2, v0 offset0:64 offset1:65
.LBB0_370:
	s_or_b64 exec, exec, s[4:5]
	v_and_b32_e32 v0, 1, v71
	v_cmp_eq_u32_e32 vcc, 0, v0
	v_cmp_eq_u32_e64 s[4:5], 1, v0
	s_waitcnt lgkmcnt(0)
	s_barrier
	s_and_saveexec_b64 s[6:7], s[4:5]
	s_xor_b64 s[4:5], exec, s[6:7]
	s_cbranch_execz .LBB0_372
; %bb.371:
	s_barrier
                                        ; implicit-def: $vgpr75
                                        ; implicit-def: $vgpr57
                                        ; implicit-def: $vgpr3
.LBB0_372:
	s_andn2_saveexec_b64 s[6:7], s[4:5]
	s_cbranch_execz .LBB0_378
; %bb.373:
	v_or_b32_e32 v1, v73, v57
	s_movk_i32 s3, 0x110
	v_mad_u32_u24 v0, v1, s3, 0
	ds_read_b64 v[4:5], v0 offset:256
	s_mov_b32 s3, 0x3fb8aa3b
	s_mov_b32 s8, 0x42b17218
	s_waitcnt lgkmcnt(0)
	s_barrier
	ds_bpermute_b32 v0, v3, v4
	v_max_f32_e32 v2, v4, v4
	s_waitcnt lgkmcnt(0)
	v_max_f32_e32 v0, v0, v0
	v_max_f32_e32 v0, v2, v0
	v_sub_f32_e32 v2, v4, v0
	v_mul_f32_e32 v4, 0x3fb8aa3b, v2
	v_fma_f32 v6, v2, s3, -v4
	v_rndne_f32_e32 v7, v4
	v_fmamk_f32 v6, v2, 0x32a5705f, v6
	v_sub_f32_e32 v4, v4, v7
	v_add_f32_e32 v4, v4, v6
	v_cvt_i32_f32_e32 v7, v7
	v_exp_f32_e32 v4, v4
	s_mov_b32 s3, 0xc2ce8ed0
	v_cmp_ngt_f32_e64 s[4:5], s3, v2
	v_mov_b32_e32 v6, 0x7f800000
	v_ldexp_f32 v4, v4, v7
	v_cndmask_b32_e64 v4, 0, v4, s[4:5]
	v_cmp_nlt_f32_e64 s[4:5], s8, v2
	s_nop 1
	v_cndmask_b32_e64 v2, v6, v4, s[4:5]
	v_mul_f32_e32 v4, v5, v2
	ds_bpermute_b32 v3, v3, v4
	v_cmp_gt_u32_e64 s[4:5], 32, v54
	s_waitcnt lgkmcnt(0)
	v_fmac_f32_e32 v3, v5, v2
	s_and_saveexec_b64 s[8:9], s[4:5]
; %bb.374:
	v_mul_u32_u24_e32 v1, 0x110, v1
	v_add_u32_e32 v1, 0, v1
	ds_write_b64 v1, v[2:3] offset:256
; %bb.375:
	s_or_b64 exec, exec, s[8:9]
	s_and_saveexec_b64 s[4:5], s[0:1]
	s_cbranch_execz .LBB0_377
; %bb.376:
	s_add_i32 s0, s33, s2
	s_lshl_b32 s0, s0, 5
	s_mov_b32 s1, 0
	s_lshl_b64 s[0:1], s[0:1], 3
	s_add_u32 s0, s30, s0
	v_or_b32_e32 v1, v75, v54
	s_addc_u32 s1, s31, s1
	v_lshlrev_b32_e32 v2, 3, v1
	v_mov_b32_e32 v1, v3
	global_store_dwordx2 v2, v[0:1], s[0:1]
.LBB0_377:
	s_or_b64 exec, exec, s[4:5]
.LBB0_378:
	s_or_b64 exec, exec, s[6:7]
	v_accvgpr_read_b32 v0, a28
	v_accvgpr_read_b32 v1, a29
	;; [unrolled: 1-line block ×3, first 2 shown]
	v_cvt_pk_f16_f32 v0, v0, v1
	v_or_b32_e32 v1, v73, v58
	v_accvgpr_read_b32 v30, a2
	v_accvgpr_read_b32 v29, a1
	;; [unrolled: 1-line block ×9, first 2 shown]
	v_mul_u32_u24_e32 v1, 0x110, v1
	v_accvgpr_read_b32 v26, a6
	v_accvgpr_read_b32 v25, a5
	;; [unrolled: 1-line block ×20, first 2 shown]
	v_cvt_pk_f16_f32 v30, v30, v31
	v_cvt_pk_f16_f32 v28, v28, v29
	s_mov_b32 s3, 0
	s_movk_i32 s4, 0x110
	v_add3_u32 v1, 0, v59, v1
	v_cvt_pk_f16_f32 v26, v26, v27
	v_cvt_pk_f16_f32 v24, v24, v25
	;; [unrolled: 1-line block ×13, first 2 shown]
	ds_write2_b32 v1, v28, v30 offset1:1
	ds_write2_b32 v1, v24, v26 offset0:8 offset1:9
	ds_write2_b32 v1, v20, v22 offset0:16 offset1:17
	;; [unrolled: 1-line block ×7, first 2 shown]
	s_waitcnt lgkmcnt(0)
	s_barrier
	s_and_saveexec_b64 s[0:1], vcc
	s_cbranch_execz .LBB0_380
; %bb.379:
	s_lshl_b32 s2, s2, 11
	s_lshl_b64 s[6:7], s[2:3], 3
	s_add_u32 s5, s30, s6
	s_addc_u32 s6, s31, s7
	s_lshl_b32 s2, s33, 6
	s_lshl_b64 s[2:3], s[2:3], 3
	s_add_u32 s2, s5, s2
	v_bfe_u32 v6, v71, 1, 4
	s_movk_i32 s5, 0x3e0
	v_and_or_b32 v2, v71, s5, v6
	v_mad_u32_u24 v0, v2, s4, v55
	ds_read2st64_b32 v[0:1], v0 offset1:17
	v_mad_u32_u24 v2, v2, s4, 0
	ds_read2st64_b32 v[2:3], v2 offset0:1 offset1:18
	s_movk_i32 s5, 0x7e0
	v_lshlrev_b32_e32 v7, 6, v56
	s_waitcnt lgkmcnt(1)
	v_cvt_f32_f16_e32 v4, v0
	v_cvt_f32_f16_sdwa v5, v0 dst_sel:DWORD dst_unused:UNUSED_PAD src0_sel:WORD_1
	v_cvt_f32_f16_e32 v0, v1
	v_cvt_f32_f16_sdwa v1, v1 dst_sel:DWORD dst_unused:UNUSED_PAD src0_sel:WORD_1
	s_addc_u32 s3, s6, s3
	s_waitcnt lgkmcnt(0)
	v_pk_fma_f32 v[4:5], v[2:3], v[4:5], 0 op_sel_hi:[0,1,0]
	v_mov_b32_e32 v2, v3
	v_pk_fma_f32 v[0:1], v[2:3], v[0:1], v[4:5] op_sel_hi:[0,1,1]
	v_add_u32_e32 v4, 2, v56
	v_lshlrev_b32_e32 v2, 1, v4
	v_and_b32_e32 v3, 15, v4
	v_and_or_b32 v5, v2, s5, v3
	v_mad_u32_u24 v2, v5, s4, v55
	ds_read2st64_b32 v[2:3], v2 offset1:17
	v_add_lshl_u32 v7, v7, v54, 3
	global_store_dwordx2 v7, v[0:1], s[2:3]
	v_mad_u32_u24 v0, v5, s4, 0
	ds_read2st64_b32 v[0:1], v0 offset0:1 offset1:18
	v_lshlrev_b32_e32 v7, 6, v4
	s_waitcnt lgkmcnt(1)
	v_cvt_f32_f16_e32 v4, v2
	v_cvt_f32_f16_sdwa v5, v2 dst_sel:DWORD dst_unused:UNUSED_PAD src0_sel:WORD_1
	v_cvt_f32_f16_e32 v2, v3
	v_cvt_f32_f16_sdwa v3, v3 dst_sel:DWORD dst_unused:UNUSED_PAD src0_sel:WORD_1
	v_add_lshl_u32 v7, v7, v54, 3
	s_waitcnt lgkmcnt(0)
	v_pk_fma_f32 v[4:5], v[0:1], v[4:5], 0 op_sel_hi:[0,1,0]
	v_mov_b32_e32 v0, v1
	v_pk_fma_f32 v[0:1], v[0:1], v[2:3], v[4:5] op_sel_hi:[0,1,1]
	v_add_u32_e32 v4, 4, v56
	v_lshlrev_b32_e32 v2, 1, v4
	v_and_b32_e32 v3, 15, v4
	v_and_or_b32 v5, v2, s5, v3
	v_mad_u32_u24 v2, v5, s4, v55
	ds_read2st64_b32 v[2:3], v2 offset1:17
	global_store_dwordx2 v7, v[0:1], s[2:3]
	v_mad_u32_u24 v0, v5, s4, 0
	ds_read2st64_b32 v[0:1], v0 offset0:1 offset1:18
	v_lshlrev_b32_e32 v7, 6, v4
	s_waitcnt lgkmcnt(1)
	v_cvt_f32_f16_e32 v4, v2
	v_cvt_f32_f16_sdwa v5, v2 dst_sel:DWORD dst_unused:UNUSED_PAD src0_sel:WORD_1
	v_cvt_f32_f16_e32 v2, v3
	v_cvt_f32_f16_sdwa v3, v3 dst_sel:DWORD dst_unused:UNUSED_PAD src0_sel:WORD_1
	v_add_lshl_u32 v7, v7, v54, 3
	s_waitcnt lgkmcnt(0)
	v_pk_fma_f32 v[4:5], v[0:1], v[4:5], 0 op_sel_hi:[0,1,0]
	v_mov_b32_e32 v0, v1
	v_pk_fma_f32 v[0:1], v[0:1], v[2:3], v[4:5] op_sel_hi:[0,1,1]
	v_add_u32_e32 v4, 6, v56
	v_lshlrev_b32_e32 v2, 1, v4
	v_and_b32_e32 v3, 15, v4
	v_and_or_b32 v5, v2, s5, v3
	v_mad_u32_u24 v2, v5, s4, v55
	ds_read2st64_b32 v[2:3], v2 offset1:17
	;; [unrolled: 20-line block ×6, first 2 shown]
	global_store_dwordx2 v7, v[0:1], s[2:3]
	v_mad_u32_u24 v0, v5, s4, 0
	ds_read2st64_b32 v[0:1], v0 offset0:1 offset1:18
	v_lshlrev_b32_e32 v7, 6, v4
	s_waitcnt lgkmcnt(1)
	v_cvt_f32_f16_e32 v4, v2
	v_cvt_f32_f16_sdwa v5, v2 dst_sel:DWORD dst_unused:UNUSED_PAD src0_sel:WORD_1
	v_cvt_f32_f16_e32 v2, v3
	v_cvt_f32_f16_sdwa v3, v3 dst_sel:DWORD dst_unused:UNUSED_PAD src0_sel:WORD_1
	v_add_lshl_u32 v7, v7, v54, 3
	s_waitcnt lgkmcnt(0)
	v_pk_fma_f32 v[4:5], v[0:1], v[4:5], 0 op_sel_hi:[0,1,0]
	v_mov_b32_e32 v0, v1
	v_pk_fma_f32 v[0:1], v[0:1], v[2:3], v[4:5] op_sel_hi:[0,1,1]
	v_add_u32_e32 v4, 16, v56
	v_lshlrev_b32_e32 v2, 1, v4
	v_and_or_b32 v5, v2, s5, v6
	v_mad_u32_u24 v2, v5, s4, v55
	ds_read2st64_b32 v[2:3], v2 offset1:17
	global_store_dwordx2 v7, v[0:1], s[2:3]
	v_mad_u32_u24 v0, v5, s4, 0
	ds_read2st64_b32 v[0:1], v0 offset0:1 offset1:18
	v_lshlrev_b32_e32 v6, 6, v4
	s_waitcnt lgkmcnt(1)
	v_cvt_f32_f16_e32 v4, v2
	v_cvt_f32_f16_sdwa v5, v2 dst_sel:DWORD dst_unused:UNUSED_PAD src0_sel:WORD_1
	v_cvt_f32_f16_e32 v2, v3
	v_cvt_f32_f16_sdwa v3, v3 dst_sel:DWORD dst_unused:UNUSED_PAD src0_sel:WORD_1
	v_add_lshl_u32 v6, v6, v54, 3
	s_waitcnt lgkmcnt(0)
	v_pk_fma_f32 v[4:5], v[0:1], v[4:5], 0 op_sel_hi:[0,1,0]
	v_mov_b32_e32 v0, v1
	v_pk_fma_f32 v[0:1], v[0:1], v[2:3], v[4:5] op_sel_hi:[0,1,1]
	v_add_u32_e32 v4, 18, v56
	v_lshlrev_b32_e32 v2, 1, v4
	v_and_b32_e32 v3, 15, v4
	v_and_or_b32 v5, v2, s5, v3
	v_mad_u32_u24 v2, v5, s4, v55
	ds_read2st64_b32 v[2:3], v2 offset1:17
	global_store_dwordx2 v6, v[0:1], s[2:3]
	v_mad_u32_u24 v0, v5, s4, 0
	ds_read2st64_b32 v[0:1], v0 offset0:1 offset1:18
	v_lshlrev_b32_e32 v6, 6, v4
	s_waitcnt lgkmcnt(1)
	v_cvt_f32_f16_e32 v4, v2
	v_cvt_f32_f16_sdwa v5, v2 dst_sel:DWORD dst_unused:UNUSED_PAD src0_sel:WORD_1
	v_cvt_f32_f16_e32 v2, v3
	v_cvt_f32_f16_sdwa v3, v3 dst_sel:DWORD dst_unused:UNUSED_PAD src0_sel:WORD_1
	v_add_lshl_u32 v6, v6, v54, 3
	s_waitcnt lgkmcnt(0)
	v_pk_fma_f32 v[4:5], v[0:1], v[4:5], 0 op_sel_hi:[0,1,0]
	v_mov_b32_e32 v0, v1
	v_pk_fma_f32 v[0:1], v[0:1], v[2:3], v[4:5] op_sel_hi:[0,1,1]
	v_add_u32_e32 v4, 20, v56
	v_lshlrev_b32_e32 v2, 1, v4
	v_and_b32_e32 v3, 15, v4
	;; [unrolled: 20-line block ×7, first 2 shown]
	v_and_or_b32 v5, v2, s5, v3
	v_mad_u32_u24 v2, v5, s4, v55
	ds_read2st64_b32 v[2:3], v2 offset1:17
	global_store_dwordx2 v6, v[0:1], s[2:3]
	v_mad_u32_u24 v0, v5, s4, 0
	ds_read2st64_b32 v[0:1], v0 offset0:1 offset1:18
	v_lshlrev_b32_e32 v6, 6, v4
	s_waitcnt lgkmcnt(1)
	v_cvt_f32_f16_e32 v4, v2
	v_cvt_f32_f16_sdwa v5, v2 dst_sel:DWORD dst_unused:UNUSED_PAD src0_sel:WORD_1
	v_cvt_f32_f16_e32 v2, v3
	v_cvt_f32_f16_sdwa v3, v3 dst_sel:DWORD dst_unused:UNUSED_PAD src0_sel:WORD_1
	v_add_lshl_u32 v6, v6, v54, 3
	s_waitcnt lgkmcnt(0)
	v_pk_fma_f32 v[4:5], v[0:1], v[4:5], 0 op_sel_hi:[0,1,0]
	v_mov_b32_e32 v0, v1
	v_pk_fma_f32 v[0:1], v[0:1], v[2:3], v[4:5] op_sel_hi:[0,1,1]
	global_store_dwordx2 v6, v[0:1], s[2:3]
.LBB0_380:
	s_or_b64 exec, exec, s[0:1]
	s_barrier
	s_endpgm
	.section	.rodata,"a",@progbits
	.p2align	6, 0x0
	.amdhsa_kernel _ZL18flash_attn_ext_f16ILi192ELi128ELi2ELi16ELb0ELb0EEvPKcS1_S1_S1_S1_PKiPfP15HIP_vector_typeIfLj2EEffffjfiS5_IjLj3EEiiiiiiiiiiiliiliiiiil
		.amdhsa_group_segment_fixed_size 0
		.amdhsa_private_segment_fixed_size 0
		.amdhsa_kernarg_size 464
		.amdhsa_user_sgpr_count 2
		.amdhsa_user_sgpr_dispatch_ptr 0
		.amdhsa_user_sgpr_queue_ptr 0
		.amdhsa_user_sgpr_kernarg_segment_ptr 1
		.amdhsa_user_sgpr_dispatch_id 0
		.amdhsa_user_sgpr_kernarg_preload_length 0
		.amdhsa_user_sgpr_kernarg_preload_offset 0
		.amdhsa_user_sgpr_private_segment_size 0
		.amdhsa_uses_dynamic_stack 0
		.amdhsa_enable_private_segment 0
		.amdhsa_system_sgpr_workgroup_id_x 1
		.amdhsa_system_sgpr_workgroup_id_y 0
		.amdhsa_system_sgpr_workgroup_id_z 0
		.amdhsa_system_sgpr_workgroup_info 0
		.amdhsa_system_vgpr_workitem_id 1
		.amdhsa_next_free_vgpr 288
		.amdhsa_next_free_sgpr 99
		.amdhsa_accum_offset 256
		.amdhsa_reserve_vcc 1
		.amdhsa_float_round_mode_32 0
		.amdhsa_float_round_mode_16_64 0
		.amdhsa_float_denorm_mode_32 3
		.amdhsa_float_denorm_mode_16_64 3
		.amdhsa_dx10_clamp 1
		.amdhsa_ieee_mode 1
		.amdhsa_fp16_overflow 0
		.amdhsa_tg_split 0
		.amdhsa_exception_fp_ieee_invalid_op 0
		.amdhsa_exception_fp_denorm_src 0
		.amdhsa_exception_fp_ieee_div_zero 0
		.amdhsa_exception_fp_ieee_overflow 0
		.amdhsa_exception_fp_ieee_underflow 0
		.amdhsa_exception_fp_ieee_inexact 0
		.amdhsa_exception_int_div_zero 0
	.end_amdhsa_kernel
	.section	.text._ZL18flash_attn_ext_f16ILi192ELi128ELi2ELi16ELb0ELb0EEvPKcS1_S1_S1_S1_PKiPfP15HIP_vector_typeIfLj2EEffffjfiS5_IjLj3EEiiiiiiiiiiiliiliiiiil,"axG",@progbits,_ZL18flash_attn_ext_f16ILi192ELi128ELi2ELi16ELb0ELb0EEvPKcS1_S1_S1_S1_PKiPfP15HIP_vector_typeIfLj2EEffffjfiS5_IjLj3EEiiiiiiiiiiiliiliiiiil,comdat
.Lfunc_end0:
	.size	_ZL18flash_attn_ext_f16ILi192ELi128ELi2ELi16ELb0ELb0EEvPKcS1_S1_S1_S1_PKiPfP15HIP_vector_typeIfLj2EEffffjfiS5_IjLj3EEiiiiiiiiiiiliiliiiiil, .Lfunc_end0-_ZL18flash_attn_ext_f16ILi192ELi128ELi2ELi16ELb0ELb0EEvPKcS1_S1_S1_S1_PKiPfP15HIP_vector_typeIfLj2EEffffjfiS5_IjLj3EEiiiiiiiiiiiliiliiiiil
                                        ; -- End function
	.set _ZL18flash_attn_ext_f16ILi192ELi128ELi2ELi16ELb0ELb0EEvPKcS1_S1_S1_S1_PKiPfP15HIP_vector_typeIfLj2EEffffjfiS5_IjLj3EEiiiiiiiiiiiliiliiiiil.num_vgpr, 256
	.set _ZL18flash_attn_ext_f16ILi192ELi128ELi2ELi16ELb0ELb0EEvPKcS1_S1_S1_S1_PKiPfP15HIP_vector_typeIfLj2EEffffjfiS5_IjLj3EEiiiiiiiiiiiliiliiiiil.num_agpr, 32
	.set _ZL18flash_attn_ext_f16ILi192ELi128ELi2ELi16ELb0ELb0EEvPKcS1_S1_S1_S1_PKiPfP15HIP_vector_typeIfLj2EEffffjfiS5_IjLj3EEiiiiiiiiiiiliiliiiiil.numbered_sgpr, 99
	.set _ZL18flash_attn_ext_f16ILi192ELi128ELi2ELi16ELb0ELb0EEvPKcS1_S1_S1_S1_PKiPfP15HIP_vector_typeIfLj2EEffffjfiS5_IjLj3EEiiiiiiiiiiiliiliiiiil.num_named_barrier, 0
	.set _ZL18flash_attn_ext_f16ILi192ELi128ELi2ELi16ELb0ELb0EEvPKcS1_S1_S1_S1_PKiPfP15HIP_vector_typeIfLj2EEffffjfiS5_IjLj3EEiiiiiiiiiiiliiliiiiil.private_seg_size, 0
	.set _ZL18flash_attn_ext_f16ILi192ELi128ELi2ELi16ELb0ELb0EEvPKcS1_S1_S1_S1_PKiPfP15HIP_vector_typeIfLj2EEffffjfiS5_IjLj3EEiiiiiiiiiiiliiliiiiil.uses_vcc, 1
	.set _ZL18flash_attn_ext_f16ILi192ELi128ELi2ELi16ELb0ELb0EEvPKcS1_S1_S1_S1_PKiPfP15HIP_vector_typeIfLj2EEffffjfiS5_IjLj3EEiiiiiiiiiiiliiliiiiil.uses_flat_scratch, 0
	.set _ZL18flash_attn_ext_f16ILi192ELi128ELi2ELi16ELb0ELb0EEvPKcS1_S1_S1_S1_PKiPfP15HIP_vector_typeIfLj2EEffffjfiS5_IjLj3EEiiiiiiiiiiiliiliiiiil.has_dyn_sized_stack, 0
	.set _ZL18flash_attn_ext_f16ILi192ELi128ELi2ELi16ELb0ELb0EEvPKcS1_S1_S1_S1_PKiPfP15HIP_vector_typeIfLj2EEffffjfiS5_IjLj3EEiiiiiiiiiiiliiliiiiil.has_recursion, 0
	.set _ZL18flash_attn_ext_f16ILi192ELi128ELi2ELi16ELb0ELb0EEvPKcS1_S1_S1_S1_PKiPfP15HIP_vector_typeIfLj2EEffffjfiS5_IjLj3EEiiiiiiiiiiiliiliiiiil.has_indirect_call, 0
	.section	.AMDGPU.csdata,"",@progbits
; Kernel info:
; codeLenInByte = 54428
; TotalNumSgprs: 105
; NumVgprs: 256
; NumAgprs: 32
; TotalNumVgprs: 288
; ScratchSize: 0
; MemoryBound: 0
; FloatMode: 240
; IeeeMode: 1
; LDSByteSize: 0 bytes/workgroup (compile time only)
; SGPRBlocks: 13
; VGPRBlocks: 35
; NumSGPRsForWavesPerEU: 105
; NumVGPRsForWavesPerEU: 288
; AccumOffset: 256
; Occupancy: 1
; WaveLimiterHint : 0
; COMPUTE_PGM_RSRC2:SCRATCH_EN: 0
; COMPUTE_PGM_RSRC2:USER_SGPR: 2
; COMPUTE_PGM_RSRC2:TRAP_HANDLER: 0
; COMPUTE_PGM_RSRC2:TGID_X_EN: 1
; COMPUTE_PGM_RSRC2:TGID_Y_EN: 0
; COMPUTE_PGM_RSRC2:TGID_Z_EN: 0
; COMPUTE_PGM_RSRC2:TIDIG_COMP_CNT: 1
; COMPUTE_PGM_RSRC3_GFX90A:ACCUM_OFFSET: 63
; COMPUTE_PGM_RSRC3_GFX90A:TG_SPLIT: 0
	.text
	.p2align	2                               ; -- Begin function __ockl_printf_append_string_n
	.type	__ockl_printf_append_string_n,@function
__ockl_printf_append_string_n:          ; @__ockl_printf_append_string_n
; %bb.0:
	s_waitcnt vmcnt(0) expcnt(0) lgkmcnt(0)
	s_getpc_b64 s[0:1]
	s_add_u32 s0, s0, __FUNCTION__._ZL18flash_attn_ext_f16ILi192ELi128ELi2ELi16ELb1ELb0EEvPKcS1_S1_S1_S1_PKiPfP15HIP_vector_typeIfLj2EEffffjfiS5_IjLj3EEiiiiiiiiiiiliiliiiiil@rel32@lo+4
	s_addc_u32 s1, s1, __FUNCTION__._ZL18flash_attn_ext_f16ILi192ELi128ELi2ELi16ELb1ELb0EEvPKcS1_S1_S1_S1_PKiPfP15HIP_vector_typeIfLj2EEffffjfiS5_IjLj3EEiiiiiiiiiiiliiliiiiil@rel32@hi+12
	v_mov_b32_e32 v2, v0
	s_mov_b64 s[2:3], 0
	s_cmp_lg_u64 s[0:1], 0
	v_mbcnt_lo_u32_b32 v3, -1, 0
	s_cbranch_scc0 .LBB1_87
; %bb.1:
	s_load_dwordx2 s[4:5], s[8:9], 0x50
	v_and_b32_e32 v0, -3, v2
	s_getpc_b64 s[0:1]
	s_add_u32 s0, s0, __FUNCTION__._ZL18flash_attn_ext_f16ILi192ELi128ELi2ELi16ELb1ELb0EEvPKcS1_S1_S1_S1_PKiPfP15HIP_vector_typeIfLj2EEffffjfiS5_IjLj3EEiiiiiiiiiiiliiliiiiil@rel32@lo+4
	s_addc_u32 s1, s1, __FUNCTION__._ZL18flash_attn_ext_f16ILi192ELi128ELi2ELi16ELb1ELb0EEvPKcS1_S1_S1_S1_PKiPfP15HIP_vector_typeIfLj2EEffffjfiS5_IjLj3EEiiiiiiiiiiiliiliiiiil@rel32@hi+12
	v_and_b32_e32 v26, 2, v2
	s_mov_b32 s16, 0
	v_mov_b32_e32 v29, 0
	v_mbcnt_hi_u32_b32 v30, -1, v3
	v_mov_b64_e32 v[32:33], s[0:1]
	s_movk_i32 s17, 0x1e0
	v_mov_b32_e32 v50, 2
	v_mov_b32_e32 v51, 1
	v_mov_b64_e32 v[6:7], v[0:1]
	s_branch .LBB1_3
.LBB1_2:                                ;   in Loop: Header=BB1_3 Depth=1
	s_or_b64 exec, exec, s[10:11]
	v_sub_co_u32_e32 v4, vcc, v4, v34
	v_lshl_add_u64 v[32:33], v[32:33], 0, v[34:35]
	s_nop 0
	v_subb_co_u32_e32 v5, vcc, v5, v35, vcc
	v_cmp_eq_u64_e32 vcc, 0, v[4:5]
	s_or_b64 s[2:3], vcc, s[2:3]
	s_andn2_b64 exec, exec, s[2:3]
	s_cbranch_execz .LBB1_85
.LBB1_3:                                ; =>This Loop Header: Depth=1
                                        ;     Child Loop BB1_6 Depth 2
                                        ;     Child Loop BB1_14 Depth 2
	;; [unrolled: 1-line block ×11, first 2 shown]
	v_cmp_gt_u64_e32 vcc, 56, v[4:5]
	v_lshl_add_u64 v[12:13], v[32:33], 0, 8
	s_nop 0
	v_cndmask_b32_e32 v35, 0, v5, vcc
	v_cndmask_b32_e32 v34, 56, v4, vcc
	v_cmp_gt_u64_e32 vcc, 8, v[4:5]
	s_and_saveexec_b64 s[0:1], vcc
	s_xor_b64 s[0:1], exec, s[0:1]
	s_cbranch_execz .LBB1_9
; %bb.4:                                ;   in Loop: Header=BB1_3 Depth=1
	v_mov_b64_e32 v[8:9], 0
	v_cmp_ne_u64_e32 vcc, 0, v[4:5]
	s_and_saveexec_b64 s[6:7], vcc
	s_cbranch_execz .LBB1_8
; %bb.5:                                ;   in Loop: Header=BB1_3 Depth=1
	v_lshlrev_b64 v[10:11], 3, v[34:35]
	s_mov_b64 s[10:11], 0
	v_mov_b64_e32 v[8:9], 0
	v_mov_b64_e32 v[12:13], v[32:33]
	s_mov_b64 s[12:13], 0
.LBB1_6:                                ;   Parent Loop BB1_3 Depth=1
                                        ; =>  This Inner Loop Header: Depth=2
	global_load_ubyte v0, v[12:13], off
	v_mov_b32_e32 v15, s16
	v_lshl_add_u64 v[12:13], v[12:13], 0, 1
	s_waitcnt vmcnt(0)
	v_and_b32_e32 v14, 0xffff, v0
	v_lshlrev_b64 v[14:15], s12, v[14:15]
	s_add_u32 s12, s12, 8
	s_addc_u32 s13, s13, 0
	v_cmp_eq_u32_e32 vcc, s12, v10
	v_or_b32_e32 v9, v15, v9
	s_or_b64 s[10:11], vcc, s[10:11]
	v_or_b32_e32 v8, v14, v8
	s_andn2_b64 exec, exec, s[10:11]
	s_cbranch_execnz .LBB1_6
; %bb.7:                                ;   in Loop: Header=BB1_3 Depth=1
	s_or_b64 exec, exec, s[10:11]
.LBB1_8:                                ;   in Loop: Header=BB1_3 Depth=1
	s_or_b64 exec, exec, s[6:7]
	v_mov_b64_e32 v[12:13], v[32:33]
.LBB1_9:                                ;   in Loop: Header=BB1_3 Depth=1
	s_or_saveexec_b64 s[0:1], s[0:1]
	v_mov_b32_e32 v0, 0
	s_xor_b64 exec, exec, s[0:1]
	s_cbranch_execz .LBB1_11
; %bb.10:                               ;   in Loop: Header=BB1_3 Depth=1
	global_load_dwordx2 v[8:9], v[32:33], off
	v_add_u32_e32 v0, -8, v34
.LBB1_11:                               ;   in Loop: Header=BB1_3 Depth=1
	s_or_b64 exec, exec, s[0:1]
	v_cmp_gt_u32_e32 vcc, 8, v0
	v_lshl_add_u64 v[14:15], v[12:13], 0, 8
                                        ; implicit-def: $vgpr10_vgpr11
	s_and_saveexec_b64 s[0:1], vcc
	s_xor_b64 s[0:1], exec, s[0:1]
	s_cbranch_execz .LBB1_17
; %bb.12:                               ;   in Loop: Header=BB1_3 Depth=1
	v_cmp_ne_u32_e32 vcc, 0, v0
	v_mov_b64_e32 v[10:11], 0
	s_and_saveexec_b64 s[6:7], vcc
	s_cbranch_execz .LBB1_16
; %bb.13:                               ;   in Loop: Header=BB1_3 Depth=1
	s_mov_b64 s[10:11], 0
	v_mov_b64_e32 v[10:11], 0
	s_mov_b64 s[12:13], 0
	s_mov_b64 s[14:15], 0
.LBB1_14:                               ;   Parent Loop BB1_3 Depth=1
                                        ; =>  This Inner Loop Header: Depth=2
	v_lshl_add_u64 v[14:15], v[12:13], 0, s[14:15]
	global_load_ubyte v14, v[14:15], off
	s_add_u32 s14, s14, 1
	v_mov_b32_e32 v15, s16
	s_addc_u32 s15, s15, 0
	v_cmp_eq_u32_e32 vcc, s14, v0
	s_waitcnt vmcnt(0)
	v_and_b32_e32 v14, 0xffff, v14
	v_lshlrev_b64 v[14:15], s12, v[14:15]
	s_add_u32 s12, s12, 8
	s_addc_u32 s13, s13, 0
	v_or_b32_e32 v11, v15, v11
	s_or_b64 s[10:11], vcc, s[10:11]
	v_or_b32_e32 v10, v14, v10
	s_andn2_b64 exec, exec, s[10:11]
	s_cbranch_execnz .LBB1_14
; %bb.15:                               ;   in Loop: Header=BB1_3 Depth=1
	s_or_b64 exec, exec, s[10:11]
.LBB1_16:                               ;   in Loop: Header=BB1_3 Depth=1
	s_or_b64 exec, exec, s[6:7]
	v_mov_b64_e32 v[14:15], v[12:13]
                                        ; implicit-def: $vgpr0
.LBB1_17:                               ;   in Loop: Header=BB1_3 Depth=1
	s_or_saveexec_b64 s[0:1], s[0:1]
	v_mov_b32_e32 v18, 0
	s_xor_b64 exec, exec, s[0:1]
	s_cbranch_execz .LBB1_19
; %bb.18:                               ;   in Loop: Header=BB1_3 Depth=1
	global_load_dwordx2 v[10:11], v[12:13], off
	v_add_u32_e32 v18, -8, v0
.LBB1_19:                               ;   in Loop: Header=BB1_3 Depth=1
	s_or_b64 exec, exec, s[0:1]
	v_cmp_gt_u32_e32 vcc, 8, v18
	v_lshl_add_u64 v[16:17], v[14:15], 0, 8
	s_and_saveexec_b64 s[0:1], vcc
	s_xor_b64 s[0:1], exec, s[0:1]
	s_cbranch_execz .LBB1_25
; %bb.20:                               ;   in Loop: Header=BB1_3 Depth=1
	v_cmp_ne_u32_e32 vcc, 0, v18
	v_mov_b64_e32 v[12:13], 0
	s_and_saveexec_b64 s[6:7], vcc
	s_cbranch_execz .LBB1_24
; %bb.21:                               ;   in Loop: Header=BB1_3 Depth=1
	s_mov_b64 s[10:11], 0
	v_mov_b64_e32 v[12:13], 0
	s_mov_b64 s[12:13], 0
	s_mov_b64 s[14:15], 0
.LBB1_22:                               ;   Parent Loop BB1_3 Depth=1
                                        ; =>  This Inner Loop Header: Depth=2
	v_lshl_add_u64 v[16:17], v[14:15], 0, s[14:15]
	global_load_ubyte v0, v[16:17], off
	s_add_u32 s14, s14, 1
	v_mov_b32_e32 v17, s16
	s_addc_u32 s15, s15, 0
	v_cmp_eq_u32_e32 vcc, s14, v18
	s_waitcnt vmcnt(0)
	v_and_b32_e32 v16, 0xffff, v0
	v_lshlrev_b64 v[16:17], s12, v[16:17]
	s_add_u32 s12, s12, 8
	s_addc_u32 s13, s13, 0
	v_or_b32_e32 v13, v17, v13
	s_or_b64 s[10:11], vcc, s[10:11]
	v_or_b32_e32 v12, v16, v12
	s_andn2_b64 exec, exec, s[10:11]
	s_cbranch_execnz .LBB1_22
; %bb.23:                               ;   in Loop: Header=BB1_3 Depth=1
	s_or_b64 exec, exec, s[10:11]
.LBB1_24:                               ;   in Loop: Header=BB1_3 Depth=1
	s_or_b64 exec, exec, s[6:7]
	v_mov_b64_e32 v[16:17], v[14:15]
                                        ; implicit-def: $vgpr18
.LBB1_25:                               ;   in Loop: Header=BB1_3 Depth=1
	s_or_saveexec_b64 s[0:1], s[0:1]
	v_mov_b32_e32 v0, 0
	s_xor_b64 exec, exec, s[0:1]
	s_cbranch_execz .LBB1_27
; %bb.26:                               ;   in Loop: Header=BB1_3 Depth=1
	global_load_dwordx2 v[12:13], v[14:15], off
	v_add_u32_e32 v0, -8, v18
.LBB1_27:                               ;   in Loop: Header=BB1_3 Depth=1
	s_or_b64 exec, exec, s[0:1]
	v_cmp_gt_u32_e32 vcc, 8, v0
	v_lshl_add_u64 v[18:19], v[16:17], 0, 8
                                        ; implicit-def: $vgpr14_vgpr15
	s_and_saveexec_b64 s[0:1], vcc
	s_xor_b64 s[0:1], exec, s[0:1]
	s_cbranch_execz .LBB1_33
; %bb.28:                               ;   in Loop: Header=BB1_3 Depth=1
	v_cmp_ne_u32_e32 vcc, 0, v0
	v_mov_b64_e32 v[14:15], 0
	s_and_saveexec_b64 s[6:7], vcc
	s_cbranch_execz .LBB1_32
; %bb.29:                               ;   in Loop: Header=BB1_3 Depth=1
	s_mov_b64 s[10:11], 0
	v_mov_b64_e32 v[14:15], 0
	s_mov_b64 s[12:13], 0
	s_mov_b64 s[14:15], 0
.LBB1_30:                               ;   Parent Loop BB1_3 Depth=1
                                        ; =>  This Inner Loop Header: Depth=2
	v_lshl_add_u64 v[18:19], v[16:17], 0, s[14:15]
	global_load_ubyte v18, v[18:19], off
	s_add_u32 s14, s14, 1
	v_mov_b32_e32 v19, s16
	s_addc_u32 s15, s15, 0
	v_cmp_eq_u32_e32 vcc, s14, v0
	s_waitcnt vmcnt(0)
	v_and_b32_e32 v18, 0xffff, v18
	v_lshlrev_b64 v[18:19], s12, v[18:19]
	s_add_u32 s12, s12, 8
	s_addc_u32 s13, s13, 0
	v_or_b32_e32 v15, v19, v15
	s_or_b64 s[10:11], vcc, s[10:11]
	v_or_b32_e32 v14, v18, v14
	s_andn2_b64 exec, exec, s[10:11]
	s_cbranch_execnz .LBB1_30
; %bb.31:                               ;   in Loop: Header=BB1_3 Depth=1
	s_or_b64 exec, exec, s[10:11]
.LBB1_32:                               ;   in Loop: Header=BB1_3 Depth=1
	s_or_b64 exec, exec, s[6:7]
	v_mov_b64_e32 v[18:19], v[16:17]
                                        ; implicit-def: $vgpr0
.LBB1_33:                               ;   in Loop: Header=BB1_3 Depth=1
	s_or_saveexec_b64 s[0:1], s[0:1]
	v_mov_b32_e32 v22, 0
	s_xor_b64 exec, exec, s[0:1]
	s_cbranch_execz .LBB1_35
; %bb.34:                               ;   in Loop: Header=BB1_3 Depth=1
	global_load_dwordx2 v[14:15], v[16:17], off
	v_add_u32_e32 v22, -8, v0
.LBB1_35:                               ;   in Loop: Header=BB1_3 Depth=1
	s_or_b64 exec, exec, s[0:1]
	v_cmp_gt_u32_e32 vcc, 8, v22
	v_lshl_add_u64 v[20:21], v[18:19], 0, 8
	s_and_saveexec_b64 s[0:1], vcc
	s_xor_b64 s[0:1], exec, s[0:1]
	s_cbranch_execz .LBB1_41
; %bb.36:                               ;   in Loop: Header=BB1_3 Depth=1
	v_cmp_ne_u32_e32 vcc, 0, v22
	v_mov_b64_e32 v[16:17], 0
	s_and_saveexec_b64 s[6:7], vcc
	s_cbranch_execz .LBB1_40
; %bb.37:                               ;   in Loop: Header=BB1_3 Depth=1
	s_mov_b64 s[10:11], 0
	v_mov_b64_e32 v[16:17], 0
	s_mov_b64 s[12:13], 0
	s_mov_b64 s[14:15], 0
.LBB1_38:                               ;   Parent Loop BB1_3 Depth=1
                                        ; =>  This Inner Loop Header: Depth=2
	v_lshl_add_u64 v[20:21], v[18:19], 0, s[14:15]
	global_load_ubyte v0, v[20:21], off
	s_add_u32 s14, s14, 1
	v_mov_b32_e32 v21, s16
	s_addc_u32 s15, s15, 0
	v_cmp_eq_u32_e32 vcc, s14, v22
	s_waitcnt vmcnt(0)
	v_and_b32_e32 v20, 0xffff, v0
	v_lshlrev_b64 v[20:21], s12, v[20:21]
	s_add_u32 s12, s12, 8
	s_addc_u32 s13, s13, 0
	v_or_b32_e32 v17, v21, v17
	s_or_b64 s[10:11], vcc, s[10:11]
	v_or_b32_e32 v16, v20, v16
	s_andn2_b64 exec, exec, s[10:11]
	s_cbranch_execnz .LBB1_38
; %bb.39:                               ;   in Loop: Header=BB1_3 Depth=1
	s_or_b64 exec, exec, s[10:11]
.LBB1_40:                               ;   in Loop: Header=BB1_3 Depth=1
	s_or_b64 exec, exec, s[6:7]
	v_mov_b64_e32 v[20:21], v[18:19]
                                        ; implicit-def: $vgpr22
.LBB1_41:                               ;   in Loop: Header=BB1_3 Depth=1
	s_or_saveexec_b64 s[0:1], s[0:1]
	v_mov_b32_e32 v0, 0
	s_xor_b64 exec, exec, s[0:1]
	s_cbranch_execz .LBB1_43
; %bb.42:                               ;   in Loop: Header=BB1_3 Depth=1
	global_load_dwordx2 v[16:17], v[18:19], off
	v_add_u32_e32 v0, -8, v22
.LBB1_43:                               ;   in Loop: Header=BB1_3 Depth=1
	s_or_b64 exec, exec, s[0:1]
	v_cmp_gt_u32_e32 vcc, 8, v0
	v_lshl_add_u64 v[22:23], v[20:21], 0, 8
                                        ; implicit-def: $vgpr18_vgpr19
	s_and_saveexec_b64 s[0:1], vcc
	s_xor_b64 s[0:1], exec, s[0:1]
	s_cbranch_execz .LBB1_49
; %bb.44:                               ;   in Loop: Header=BB1_3 Depth=1
	v_cmp_ne_u32_e32 vcc, 0, v0
	v_mov_b64_e32 v[18:19], 0
	s_and_saveexec_b64 s[6:7], vcc
	s_cbranch_execz .LBB1_48
; %bb.45:                               ;   in Loop: Header=BB1_3 Depth=1
	s_mov_b64 s[10:11], 0
	v_mov_b64_e32 v[18:19], 0
	s_mov_b64 s[12:13], 0
	s_mov_b64 s[14:15], 0
.LBB1_46:                               ;   Parent Loop BB1_3 Depth=1
                                        ; =>  This Inner Loop Header: Depth=2
	v_lshl_add_u64 v[22:23], v[20:21], 0, s[14:15]
	global_load_ubyte v22, v[22:23], off
	s_add_u32 s14, s14, 1
	v_mov_b32_e32 v23, s16
	s_addc_u32 s15, s15, 0
	v_cmp_eq_u32_e32 vcc, s14, v0
	s_waitcnt vmcnt(0)
	v_and_b32_e32 v22, 0xffff, v22
	v_lshlrev_b64 v[22:23], s12, v[22:23]
	s_add_u32 s12, s12, 8
	s_addc_u32 s13, s13, 0
	v_or_b32_e32 v19, v23, v19
	s_or_b64 s[10:11], vcc, s[10:11]
	v_or_b32_e32 v18, v22, v18
	s_andn2_b64 exec, exec, s[10:11]
	s_cbranch_execnz .LBB1_46
; %bb.47:                               ;   in Loop: Header=BB1_3 Depth=1
	s_or_b64 exec, exec, s[10:11]
.LBB1_48:                               ;   in Loop: Header=BB1_3 Depth=1
	s_or_b64 exec, exec, s[6:7]
	v_mov_b64_e32 v[22:23], v[20:21]
                                        ; implicit-def: $vgpr0
.LBB1_49:                               ;   in Loop: Header=BB1_3 Depth=1
	s_or_saveexec_b64 s[0:1], s[0:1]
	v_mov_b32_e32 v24, 0
	s_xor_b64 exec, exec, s[0:1]
	s_cbranch_execz .LBB1_51
; %bb.50:                               ;   in Loop: Header=BB1_3 Depth=1
	global_load_dwordx2 v[18:19], v[20:21], off
	v_add_u32_e32 v24, -8, v0
.LBB1_51:                               ;   in Loop: Header=BB1_3 Depth=1
	s_or_b64 exec, exec, s[0:1]
	v_cmp_gt_u32_e32 vcc, 8, v24
	s_and_saveexec_b64 s[0:1], vcc
	s_xor_b64 s[0:1], exec, s[0:1]
	s_cbranch_execz .LBB1_57
; %bb.52:                               ;   in Loop: Header=BB1_3 Depth=1
	v_cmp_ne_u32_e32 vcc, 0, v24
	v_mov_b64_e32 v[20:21], 0
	s_and_saveexec_b64 s[6:7], vcc
	s_cbranch_execz .LBB1_56
; %bb.53:                               ;   in Loop: Header=BB1_3 Depth=1
	s_mov_b64 s[10:11], 0
	v_mov_b64_e32 v[20:21], 0
	s_mov_b64 s[12:13], 0
.LBB1_54:                               ;   Parent Loop BB1_3 Depth=1
                                        ; =>  This Inner Loop Header: Depth=2
	global_load_ubyte v0, v[22:23], off
	v_mov_b32_e32 v37, s16
	v_add_u32_e32 v24, -1, v24
	v_cmp_eq_u32_e32 vcc, 0, v24
	v_lshl_add_u64 v[22:23], v[22:23], 0, 1
	s_waitcnt vmcnt(0)
	v_and_b32_e32 v36, 0xffff, v0
	v_lshlrev_b64 v[36:37], s12, v[36:37]
	s_add_u32 s12, s12, 8
	s_addc_u32 s13, s13, 0
	v_or_b32_e32 v21, v37, v21
	s_or_b64 s[10:11], vcc, s[10:11]
	v_or_b32_e32 v20, v36, v20
	s_andn2_b64 exec, exec, s[10:11]
	s_cbranch_execnz .LBB1_54
; %bb.55:                               ;   in Loop: Header=BB1_3 Depth=1
	s_or_b64 exec, exec, s[10:11]
.LBB1_56:                               ;   in Loop: Header=BB1_3 Depth=1
	s_or_b64 exec, exec, s[6:7]
                                        ; implicit-def: $vgpr22_vgpr23
.LBB1_57:                               ;   in Loop: Header=BB1_3 Depth=1
	s_andn2_saveexec_b64 s[0:1], s[0:1]
	s_cbranch_execz .LBB1_59
; %bb.58:                               ;   in Loop: Header=BB1_3 Depth=1
	global_load_dwordx2 v[20:21], v[22:23], off
.LBB1_59:                               ;   in Loop: Header=BB1_3 Depth=1
	s_or_b64 exec, exec, s[0:1]
	v_readfirstlane_b32 s0, v30
	v_mov_b64_e32 v[36:37], 0
	s_nop 0
	v_cmp_eq_u32_e64 s[0:1], s0, v30
	s_and_saveexec_b64 s[6:7], s[0:1]
	s_cbranch_execz .LBB1_65
; %bb.60:                               ;   in Loop: Header=BB1_3 Depth=1
	s_waitcnt lgkmcnt(0)
	global_load_dwordx2 v[24:25], v29, s[4:5] offset:24 sc0 sc1
	s_waitcnt vmcnt(0)
	buffer_inv sc0 sc1
	global_load_dwordx2 v[22:23], v29, s[4:5] offset:40
	global_load_dwordx2 v[36:37], v29, s[4:5]
	s_waitcnt vmcnt(1)
	v_and_b32_e32 v0, v22, v24
	v_and_b32_e32 v22, v23, v25
	v_mul_lo_u32 v22, v22, 24
	v_mul_hi_u32 v23, v0, 24
	v_add_u32_e32 v23, v23, v22
	v_mul_lo_u32 v22, v0, 24
	s_waitcnt vmcnt(0)
	v_lshl_add_u64 v[22:23], v[36:37], 0, v[22:23]
	global_load_dwordx2 v[22:23], v[22:23], off sc0 sc1
	s_waitcnt vmcnt(0)
	global_atomic_cmpswap_x2 v[36:37], v29, v[22:25], s[4:5] offset:24 sc0 sc1
	s_waitcnt vmcnt(0)
	buffer_inv sc0 sc1
	v_cmp_ne_u64_e32 vcc, v[36:37], v[24:25]
	s_and_saveexec_b64 s[10:11], vcc
	s_cbranch_execz .LBB1_64
; %bb.61:                               ;   in Loop: Header=BB1_3 Depth=1
	s_mov_b64 s[12:13], 0
.LBB1_62:                               ;   Parent Loop BB1_3 Depth=1
                                        ; =>  This Inner Loop Header: Depth=2
	s_sleep 1
	global_load_dwordx2 v[22:23], v29, s[4:5] offset:40
	global_load_dwordx2 v[38:39], v29, s[4:5]
	v_mov_b64_e32 v[24:25], v[36:37]
	s_waitcnt vmcnt(1)
	v_and_b32_e32 v0, v22, v24
	v_and_b32_e32 v27, v23, v25
	s_waitcnt vmcnt(0)
	v_mad_u64_u32 v[22:23], s[14:15], v0, 24, v[38:39]
	v_mov_b32_e32 v0, v23
	v_mad_u64_u32 v[36:37], s[14:15], v27, 24, v[0:1]
	v_mov_b32_e32 v23, v36
	global_load_dwordx2 v[22:23], v[22:23], off sc0 sc1
	s_waitcnt vmcnt(0)
	global_atomic_cmpswap_x2 v[36:37], v29, v[22:25], s[4:5] offset:24 sc0 sc1
	s_waitcnt vmcnt(0)
	buffer_inv sc0 sc1
	v_cmp_eq_u64_e32 vcc, v[36:37], v[24:25]
	s_or_b64 s[12:13], vcc, s[12:13]
	s_andn2_b64 exec, exec, s[12:13]
	s_cbranch_execnz .LBB1_62
; %bb.63:                               ;   in Loop: Header=BB1_3 Depth=1
	s_or_b64 exec, exec, s[12:13]
.LBB1_64:                               ;   in Loop: Header=BB1_3 Depth=1
	s_or_b64 exec, exec, s[10:11]
.LBB1_65:                               ;   in Loop: Header=BB1_3 Depth=1
	s_or_b64 exec, exec, s[6:7]
	s_waitcnt lgkmcnt(0)
	global_load_dwordx2 v[38:39], v29, s[4:5] offset:40
	global_load_dwordx4 v[22:25], v29, s[4:5]
	v_readfirstlane_b32 s7, v37
	v_readfirstlane_b32 s6, v36
	s_mov_b64 s[10:11], exec
	s_waitcnt vmcnt(1)
	v_readfirstlane_b32 s12, v38
	v_readfirstlane_b32 s13, v39
	s_and_b64 s[12:13], s[12:13], s[6:7]
	s_mul_i32 s14, s13, 24
	s_mul_hi_u32 s15, s12, 24
	s_add_i32 s15, s15, s14
	s_mul_i32 s14, s12, 24
	s_waitcnt vmcnt(0)
	v_lshl_add_u64 v[36:37], v[22:23], 0, s[14:15]
	s_and_saveexec_b64 s[14:15], s[0:1]
	s_cbranch_execz .LBB1_67
; %bb.66:                               ;   in Loop: Header=BB1_3 Depth=1
	v_mov_b64_e32 v[48:49], s[10:11]
	global_store_dwordx4 v[36:37], v[48:51], off offset:8
.LBB1_67:                               ;   in Loop: Header=BB1_3 Depth=1
	s_or_b64 exec, exec, s[14:15]
	v_cmp_gt_u64_e32 vcc, 57, v[4:5]
	s_lshl_b64 s[10:11], s[12:13], 12
	v_and_b32_e32 v6, 0xffffff1f, v6
	v_cndmask_b32_e32 v0, 0, v26, vcc
	v_lshl_add_u64 v[24:25], v[24:25], 0, s[10:11]
	v_lshl_add_u32 v27, v34, 2, 28
	v_or_b32_e32 v0, v6, v0
	v_and_or_b32 v6, v27, s17, v0
	v_lshlrev_b32_e32 v28, 6, v30
	v_readfirstlane_b32 s10, v24
	v_readfirstlane_b32 s11, v25
	s_nop 4
	global_store_dwordx4 v28, v[6:9], s[10:11]
	global_store_dwordx4 v28, v[10:13], s[10:11] offset:16
	global_store_dwordx4 v28, v[14:17], s[10:11] offset:32
	;; [unrolled: 1-line block ×3, first 2 shown]
	s_and_saveexec_b64 s[10:11], s[0:1]
	s_cbranch_execz .LBB1_75
; %bb.68:                               ;   in Loop: Header=BB1_3 Depth=1
	global_load_dwordx2 v[14:15], v29, s[4:5] offset:32 sc0 sc1
	global_load_dwordx2 v[6:7], v29, s[4:5] offset:40
	v_mov_b32_e32 v12, s6
	v_mov_b32_e32 v13, s7
	s_waitcnt vmcnt(0)
	v_readfirstlane_b32 s12, v6
	v_readfirstlane_b32 s13, v7
	s_and_b64 s[12:13], s[12:13], s[6:7]
	s_mul_i32 s13, s13, 24
	s_mul_hi_u32 s14, s12, 24
	s_mul_i32 s12, s12, 24
	s_add_i32 s13, s14, s13
	v_lshl_add_u64 v[10:11], v[22:23], 0, s[12:13]
	global_store_dwordx2 v[10:11], v[14:15], off
	buffer_wbl2 sc0 sc1
	s_waitcnt vmcnt(0)
	global_atomic_cmpswap_x2 v[8:9], v29, v[12:15], s[4:5] offset:32 sc0 sc1
	s_waitcnt vmcnt(0)
	v_cmp_ne_u64_e32 vcc, v[8:9], v[14:15]
	s_and_saveexec_b64 s[12:13], vcc
	s_cbranch_execz .LBB1_71
; %bb.69:                               ;   in Loop: Header=BB1_3 Depth=1
	s_mov_b64 s[14:15], 0
.LBB1_70:                               ;   Parent Loop BB1_3 Depth=1
                                        ; =>  This Inner Loop Header: Depth=2
	s_sleep 1
	global_store_dwordx2 v[10:11], v[8:9], off
	v_mov_b32_e32 v6, s6
	v_mov_b32_e32 v7, s7
	buffer_wbl2 sc0 sc1
	s_waitcnt vmcnt(0)
	global_atomic_cmpswap_x2 v[6:7], v29, v[6:9], s[4:5] offset:32 sc0 sc1
	s_waitcnt vmcnt(0)
	v_cmp_eq_u64_e32 vcc, v[6:7], v[8:9]
	s_or_b64 s[14:15], vcc, s[14:15]
	v_mov_b64_e32 v[8:9], v[6:7]
	s_andn2_b64 exec, exec, s[14:15]
	s_cbranch_execnz .LBB1_70
.LBB1_71:                               ;   in Loop: Header=BB1_3 Depth=1
	s_or_b64 exec, exec, s[12:13]
	global_load_dwordx2 v[6:7], v29, s[4:5] offset:16
	s_mov_b64 s[14:15], exec
	v_mbcnt_lo_u32_b32 v0, s14, 0
	v_mbcnt_hi_u32_b32 v0, s15, v0
	v_cmp_eq_u32_e32 vcc, 0, v0
	s_and_saveexec_b64 s[12:13], vcc
	s_cbranch_execz .LBB1_73
; %bb.72:                               ;   in Loop: Header=BB1_3 Depth=1
	s_bcnt1_i32_b64 s14, s[14:15]
	v_mov_b32_e32 v8, s14
	v_mov_b32_e32 v9, v29
	buffer_wbl2 sc0 sc1
	s_waitcnt vmcnt(0)
	global_atomic_add_x2 v[6:7], v[8:9], off offset:8 sc1
.LBB1_73:                               ;   in Loop: Header=BB1_3 Depth=1
	s_or_b64 exec, exec, s[12:13]
	s_waitcnt vmcnt(0)
	global_load_dwordx2 v[8:9], v[6:7], off offset:16
	s_waitcnt vmcnt(0)
	v_cmp_eq_u64_e32 vcc, 0, v[8:9]
	s_cbranch_vccnz .LBB1_75
; %bb.74:                               ;   in Loop: Header=BB1_3 Depth=1
	global_load_dword v6, v[6:7], off offset:24
	v_mov_b32_e32 v7, v29
	s_waitcnt vmcnt(0)
	v_readfirstlane_b32 s12, v6
	s_and_b32 m0, s12, 0xffffff
	buffer_wbl2 sc0 sc1
	global_store_dwordx2 v[8:9], v[6:7], off sc0 sc1
	s_sendmsg sendmsg(MSG_INTERRUPT)
.LBB1_75:                               ;   in Loop: Header=BB1_3 Depth=1
	s_or_b64 exec, exec, s[10:11]
	v_lshl_add_u64 v[6:7], v[24:25], 0, v[28:29]
	s_branch .LBB1_79
.LBB1_76:                               ;   in Loop: Header=BB1_79 Depth=2
	s_or_b64 exec, exec, s[10:11]
	v_readfirstlane_b32 s10, v0
	s_cmp_eq_u32 s10, 0
	s_cbranch_scc1 .LBB1_78
; %bb.77:                               ;   in Loop: Header=BB1_79 Depth=2
	s_sleep 1
	s_cbranch_execnz .LBB1_79
	s_branch .LBB1_81
.LBB1_78:                               ;   in Loop: Header=BB1_3 Depth=1
	s_branch .LBB1_81
.LBB1_79:                               ;   Parent Loop BB1_3 Depth=1
                                        ; =>  This Inner Loop Header: Depth=2
	v_mov_b32_e32 v0, 1
	s_and_saveexec_b64 s[10:11], s[0:1]
	s_cbranch_execz .LBB1_76
; %bb.80:                               ;   in Loop: Header=BB1_79 Depth=2
	global_load_dword v0, v[36:37], off offset:20 sc0 sc1
	s_waitcnt vmcnt(0)
	buffer_inv sc0 sc1
	v_and_b32_e32 v0, 1, v0
	s_branch .LBB1_76
.LBB1_81:                               ;   in Loop: Header=BB1_3 Depth=1
	global_load_dwordx2 v[6:7], v[6:7], off
	s_and_saveexec_b64 s[10:11], s[0:1]
	s_cbranch_execz .LBB1_2
; %bb.82:                               ;   in Loop: Header=BB1_3 Depth=1
	global_load_dwordx2 v[8:9], v29, s[4:5] offset:40
	global_load_dwordx2 v[16:17], v29, s[4:5] offset:24 sc0 sc1
	global_load_dwordx2 v[10:11], v29, s[4:5]
	s_waitcnt vmcnt(2)
	v_readfirstlane_b32 s12, v8
	v_readfirstlane_b32 s13, v9
	s_add_u32 s14, s12, 1
	s_addc_u32 s15, s13, 0
	s_add_u32 s0, s14, s6
	s_addc_u32 s1, s15, s7
	s_cmp_eq_u64 s[0:1], 0
	s_cselect_b32 s1, s15, s1
	s_cselect_b32 s0, s14, s0
	s_and_b64 s[6:7], s[0:1], s[12:13]
	s_mul_i32 s7, s7, 24
	s_mul_hi_u32 s12, s6, 24
	s_mul_i32 s6, s6, 24
	s_add_i32 s7, s12, s7
	s_waitcnt vmcnt(0)
	v_lshl_add_u64 v[12:13], v[10:11], 0, s[6:7]
	v_mov_b32_e32 v14, s0
	global_store_dwordx2 v[12:13], v[16:17], off
	v_mov_b32_e32 v15, s1
	buffer_wbl2 sc0 sc1
	s_waitcnt vmcnt(0)
	global_atomic_cmpswap_x2 v[10:11], v29, v[14:17], s[4:5] offset:24 sc0 sc1
	s_waitcnt vmcnt(0)
	v_cmp_ne_u64_e32 vcc, v[10:11], v[16:17]
	s_and_b64 exec, exec, vcc
	s_cbranch_execz .LBB1_2
; %bb.83:                               ;   in Loop: Header=BB1_3 Depth=1
	s_mov_b64 s[6:7], 0
.LBB1_84:                               ;   Parent Loop BB1_3 Depth=1
                                        ; =>  This Inner Loop Header: Depth=2
	s_sleep 1
	global_store_dwordx2 v[12:13], v[10:11], off
	v_mov_b32_e32 v8, s0
	v_mov_b32_e32 v9, s1
	buffer_wbl2 sc0 sc1
	s_waitcnt vmcnt(0)
	global_atomic_cmpswap_x2 v[8:9], v29, v[8:11], s[4:5] offset:24 sc0 sc1
	s_waitcnt vmcnt(0)
	v_cmp_eq_u64_e32 vcc, v[8:9], v[10:11]
	s_or_b64 s[6:7], vcc, s[6:7]
	v_mov_b64_e32 v[10:11], v[8:9]
	s_andn2_b64 exec, exec, s[6:7]
	s_cbranch_execnz .LBB1_84
	s_branch .LBB1_2
.LBB1_85:
	s_or_b64 exec, exec, s[2:3]
.LBB1_86:
	s_waitcnt vmcnt(0)
	v_mov_b32_e32 v0, v6
	v_mov_b32_e32 v1, v7
	s_waitcnt lgkmcnt(0)
	s_setpc_b64 s[30:31]
.LBB1_87:
                                        ; implicit-def: $vgpr6_vgpr7
	s_cbranch_execz .LBB1_86
; %bb.88:
	s_load_dwordx2 s[2:3], s[8:9], 0x50
	v_mbcnt_hi_u32_b32 v3, -1, v3
	v_mov_b64_e32 v[8:9], 0
	v_readfirstlane_b32 s0, v3
	s_nop 1
	v_cmp_eq_u32_e64 s[0:1], s0, v3
	s_and_saveexec_b64 s[4:5], s[0:1]
	s_cbranch_execz .LBB1_94
; %bb.89:
	v_mov_b32_e32 v0, 0
	s_waitcnt lgkmcnt(0)
	global_load_dwordx2 v[6:7], v0, s[2:3] offset:24 sc0 sc1
	s_waitcnt vmcnt(0)
	buffer_inv sc0 sc1
	global_load_dwordx2 v[4:5], v0, s[2:3] offset:40
	global_load_dwordx2 v[8:9], v0, s[2:3]
	s_waitcnt vmcnt(1)
	v_and_b32_e32 v4, v4, v6
	v_and_b32_e32 v5, v5, v7
	v_mul_lo_u32 v5, v5, 24
	v_mul_hi_u32 v10, v4, 24
	v_add_u32_e32 v5, v10, v5
	v_mul_lo_u32 v4, v4, 24
	s_waitcnt vmcnt(0)
	v_lshl_add_u64 v[4:5], v[8:9], 0, v[4:5]
	global_load_dwordx2 v[4:5], v[4:5], off sc0 sc1
	s_waitcnt vmcnt(0)
	global_atomic_cmpswap_x2 v[8:9], v0, v[4:7], s[2:3] offset:24 sc0 sc1
	s_waitcnt vmcnt(0)
	buffer_inv sc0 sc1
	v_cmp_ne_u64_e32 vcc, v[8:9], v[6:7]
	s_and_saveexec_b64 s[6:7], vcc
	s_cbranch_execz .LBB1_93
; %bb.90:
	s_mov_b64 s[8:9], 0
.LBB1_91:                               ; =>This Inner Loop Header: Depth=1
	s_sleep 1
	global_load_dwordx2 v[4:5], v0, s[2:3] offset:40
	global_load_dwordx2 v[10:11], v0, s[2:3]
	v_mov_b64_e32 v[6:7], v[8:9]
	s_waitcnt vmcnt(1)
	v_and_b32_e32 v4, v4, v6
	v_and_b32_e32 v9, v5, v7
	s_waitcnt vmcnt(0)
	v_mad_u64_u32 v[4:5], s[10:11], v4, 24, v[10:11]
	v_mov_b32_e32 v8, v5
	v_mad_u64_u32 v[8:9], s[10:11], v9, 24, v[8:9]
	v_mov_b32_e32 v5, v8
	global_load_dwordx2 v[4:5], v[4:5], off sc0 sc1
	s_waitcnt vmcnt(0)
	global_atomic_cmpswap_x2 v[8:9], v0, v[4:7], s[2:3] offset:24 sc0 sc1
	s_waitcnt vmcnt(0)
	buffer_inv sc0 sc1
	v_cmp_eq_u64_e32 vcc, v[8:9], v[6:7]
	s_or_b64 s[8:9], vcc, s[8:9]
	s_andn2_b64 exec, exec, s[8:9]
	s_cbranch_execnz .LBB1_91
; %bb.92:
	s_or_b64 exec, exec, s[8:9]
.LBB1_93:
	s_or_b64 exec, exec, s[6:7]
.LBB1_94:
	s_or_b64 exec, exec, s[4:5]
	v_mov_b32_e32 v11, 0
	s_waitcnt lgkmcnt(0)
	global_load_dwordx2 v[12:13], v11, s[2:3] offset:40
	global_load_dwordx4 v[4:7], v11, s[2:3]
	v_readfirstlane_b32 s5, v9
	v_readfirstlane_b32 s4, v8
	s_mov_b64 s[6:7], exec
	s_waitcnt vmcnt(1)
	v_readfirstlane_b32 s8, v12
	v_readfirstlane_b32 s9, v13
	s_and_b64 s[8:9], s[8:9], s[4:5]
	s_mul_i32 s10, s9, 24
	s_mul_hi_u32 s11, s8, 24
	s_add_i32 s11, s11, s10
	s_mul_i32 s10, s8, 24
	s_waitcnt vmcnt(0)
	v_lshl_add_u64 v[8:9], v[4:5], 0, s[10:11]
	s_and_saveexec_b64 s[10:11], s[0:1]
	s_cbranch_execz .LBB1_96
; %bb.95:
	v_mov_b64_e32 v[12:13], s[6:7]
	v_mov_b32_e32 v14, 2
	v_mov_b32_e32 v15, 1
	global_store_dwordx4 v[8:9], v[12:15], off offset:8
.LBB1_96:
	s_or_b64 exec, exec, s[10:11]
	s_lshl_b64 s[6:7], s[8:9], 12
	v_lshl_add_u64 v[6:7], v[6:7], 0, s[6:7]
	s_movk_i32 s6, 0xff1f
	s_mov_b32 s8, 0
	v_and_or_b32 v0, v2, s6, 32
	v_lshlrev_b32_e32 v10, 6, v3
	v_mov_b32_e32 v2, v11
	v_mov_b32_e32 v3, v11
	v_readfirstlane_b32 s6, v6
	v_readfirstlane_b32 s7, v7
	s_mov_b32 s9, s8
	s_mov_b32 s10, s8
	;; [unrolled: 1-line block ×3, first 2 shown]
	s_nop 1
	global_store_dwordx4 v10, v[0:3], s[6:7]
	s_nop 1
	v_mov_b64_e32 v[0:1], s[8:9]
	v_mov_b64_e32 v[2:3], s[10:11]
	global_store_dwordx4 v10, v[0:3], s[6:7] offset:16
	global_store_dwordx4 v10, v[0:3], s[6:7] offset:32
	global_store_dwordx4 v10, v[0:3], s[6:7] offset:48
	s_and_saveexec_b64 s[6:7], s[0:1]
	s_cbranch_execz .LBB1_104
; %bb.97:
	v_mov_b32_e32 v12, 0
	global_load_dwordx2 v[16:17], v12, s[2:3] offset:32 sc0 sc1
	global_load_dwordx2 v[0:1], v12, s[2:3] offset:40
	v_mov_b32_e32 v14, s4
	v_mov_b32_e32 v15, s5
	s_waitcnt vmcnt(0)
	v_and_b32_e32 v0, s4, v0
	v_and_b32_e32 v1, s5, v1
	v_mul_lo_u32 v1, v1, 24
	v_mul_hi_u32 v2, v0, 24
	v_mul_lo_u32 v0, v0, 24
	v_add_u32_e32 v1, v2, v1
	v_lshl_add_u64 v[4:5], v[4:5], 0, v[0:1]
	global_store_dwordx2 v[4:5], v[16:17], off
	buffer_wbl2 sc0 sc1
	s_waitcnt vmcnt(0)
	global_atomic_cmpswap_x2 v[2:3], v12, v[14:17], s[2:3] offset:32 sc0 sc1
	s_waitcnt vmcnt(0)
	v_cmp_ne_u64_e32 vcc, v[2:3], v[16:17]
	s_and_saveexec_b64 s[8:9], vcc
	s_cbranch_execz .LBB1_100
; %bb.98:
	s_mov_b64 s[10:11], 0
.LBB1_99:                               ; =>This Inner Loop Header: Depth=1
	s_sleep 1
	global_store_dwordx2 v[4:5], v[2:3], off
	v_mov_b32_e32 v0, s4
	v_mov_b32_e32 v1, s5
	buffer_wbl2 sc0 sc1
	s_waitcnt vmcnt(0)
	global_atomic_cmpswap_x2 v[0:1], v12, v[0:3], s[2:3] offset:32 sc0 sc1
	s_waitcnt vmcnt(0)
	v_cmp_eq_u64_e32 vcc, v[0:1], v[2:3]
	s_or_b64 s[10:11], vcc, s[10:11]
	v_mov_b64_e32 v[2:3], v[0:1]
	s_andn2_b64 exec, exec, s[10:11]
	s_cbranch_execnz .LBB1_99
.LBB1_100:
	s_or_b64 exec, exec, s[8:9]
	v_mov_b32_e32 v3, 0
	global_load_dwordx2 v[0:1], v3, s[2:3] offset:16
	s_mov_b64 s[8:9], exec
	v_mbcnt_lo_u32_b32 v2, s8, 0
	v_mbcnt_hi_u32_b32 v2, s9, v2
	v_cmp_eq_u32_e32 vcc, 0, v2
	s_and_saveexec_b64 s[10:11], vcc
	s_cbranch_execz .LBB1_102
; %bb.101:
	s_bcnt1_i32_b64 s8, s[8:9]
	v_mov_b32_e32 v2, s8
	buffer_wbl2 sc0 sc1
	s_waitcnt vmcnt(0)
	global_atomic_add_x2 v[0:1], v[2:3], off offset:8 sc1
.LBB1_102:
	s_or_b64 exec, exec, s[10:11]
	s_waitcnt vmcnt(0)
	global_load_dwordx2 v[2:3], v[0:1], off offset:16
	s_waitcnt vmcnt(0)
	v_cmp_eq_u64_e32 vcc, 0, v[2:3]
	s_cbranch_vccnz .LBB1_104
; %bb.103:
	global_load_dword v0, v[0:1], off offset:24
	v_mov_b32_e32 v1, 0
	s_waitcnt vmcnt(0)
	v_readfirstlane_b32 s8, v0
	s_and_b32 m0, s8, 0xffffff
	buffer_wbl2 sc0 sc1
	global_store_dwordx2 v[2:3], v[0:1], off sc0 sc1
	s_sendmsg sendmsg(MSG_INTERRUPT)
.LBB1_104:
	s_or_b64 exec, exec, s[6:7]
	v_lshl_add_u64 v[0:1], v[6:7], 0, v[10:11]
	s_branch .LBB1_108
.LBB1_105:                              ;   in Loop: Header=BB1_108 Depth=1
	s_or_b64 exec, exec, s[6:7]
	v_readfirstlane_b32 s6, v2
	s_cmp_eq_u32 s6, 0
	s_cbranch_scc1 .LBB1_107
; %bb.106:                              ;   in Loop: Header=BB1_108 Depth=1
	s_sleep 1
	s_cbranch_execnz .LBB1_108
	s_branch .LBB1_110
.LBB1_107:
	s_branch .LBB1_110
.LBB1_108:                              ; =>This Inner Loop Header: Depth=1
	v_mov_b32_e32 v2, 1
	s_and_saveexec_b64 s[6:7], s[0:1]
	s_cbranch_execz .LBB1_105
; %bb.109:                              ;   in Loop: Header=BB1_108 Depth=1
	global_load_dword v2, v[8:9], off offset:20 sc0 sc1
	s_waitcnt vmcnt(0)
	buffer_inv sc0 sc1
	v_and_b32_e32 v2, 1, v2
	s_branch .LBB1_105
.LBB1_110:
	global_load_dwordx2 v[6:7], v[0:1], off
	s_and_saveexec_b64 s[6:7], s[0:1]
	s_cbranch_execz .LBB1_113
; %bb.111:
	v_mov_b32_e32 v8, 0
	global_load_dwordx2 v[0:1], v8, s[2:3] offset:40
	global_load_dwordx2 v[12:13], v8, s[2:3] offset:24 sc0 sc1
	global_load_dwordx2 v[2:3], v8, s[2:3]
	s_waitcnt vmcnt(2)
	v_readfirstlane_b32 s8, v0
	v_readfirstlane_b32 s9, v1
	s_add_u32 s10, s8, 1
	s_addc_u32 s11, s9, 0
	s_add_u32 s0, s10, s4
	s_addc_u32 s1, s11, s5
	s_cmp_eq_u64 s[0:1], 0
	s_cselect_b32 s1, s11, s1
	s_cselect_b32 s0, s10, s0
	s_and_b64 s[4:5], s[0:1], s[8:9]
	s_mul_i32 s5, s5, 24
	s_mul_hi_u32 s8, s4, 24
	s_mul_i32 s4, s4, 24
	s_add_i32 s5, s8, s5
	s_waitcnt vmcnt(0)
	v_lshl_add_u64 v[4:5], v[2:3], 0, s[4:5]
	v_mov_b32_e32 v10, s0
	global_store_dwordx2 v[4:5], v[12:13], off
	v_mov_b32_e32 v11, s1
	buffer_wbl2 sc0 sc1
	s_waitcnt vmcnt(0)
	global_atomic_cmpswap_x2 v[2:3], v8, v[10:13], s[2:3] offset:24 sc0 sc1
	s_mov_b64 s[4:5], 0
	s_waitcnt vmcnt(0)
	v_cmp_ne_u64_e32 vcc, v[2:3], v[12:13]
	s_and_b64 exec, exec, vcc
	s_cbranch_execz .LBB1_113
.LBB1_112:                              ; =>This Inner Loop Header: Depth=1
	s_sleep 1
	global_store_dwordx2 v[4:5], v[2:3], off
	v_mov_b32_e32 v0, s0
	v_mov_b32_e32 v1, s1
	buffer_wbl2 sc0 sc1
	s_waitcnt vmcnt(0)
	global_atomic_cmpswap_x2 v[0:1], v8, v[0:3], s[2:3] offset:24 sc0 sc1
	s_waitcnt vmcnt(0)
	v_cmp_eq_u64_e32 vcc, v[0:1], v[2:3]
	s_or_b64 s[4:5], vcc, s[4:5]
	v_mov_b64_e32 v[2:3], v[0:1]
	s_andn2_b64 exec, exec, s[4:5]
	s_cbranch_execnz .LBB1_112
.LBB1_113:
	s_or_b64 exec, exec, s[6:7]
	s_waitcnt vmcnt(0)
	v_mov_b32_e32 v0, v6
	v_mov_b32_e32 v1, v7
	s_waitcnt lgkmcnt(0)
	s_setpc_b64 s[30:31]
.Lfunc_end1:
	.size	__ockl_printf_append_string_n, .Lfunc_end1-__ockl_printf_append_string_n
                                        ; -- End function
	.set .L__ockl_printf_append_string_n.num_vgpr, 52
	.set .L__ockl_printf_append_string_n.num_agpr, 0
	.set .L__ockl_printf_append_string_n.numbered_sgpr, 32
	.set .L__ockl_printf_append_string_n.num_named_barrier, 0
	.set .L__ockl_printf_append_string_n.private_seg_size, 0
	.set .L__ockl_printf_append_string_n.uses_vcc, 1
	.set .L__ockl_printf_append_string_n.uses_flat_scratch, 0
	.set .L__ockl_printf_append_string_n.has_dyn_sized_stack, 0
	.set .L__ockl_printf_append_string_n.has_recursion, 0
	.set .L__ockl_printf_append_string_n.has_indirect_call, 0
	.section	.AMDGPU.csdata,"",@progbits
; Function info:
; codeLenInByte = 3812
; TotalNumSgprs: 38
; NumVgprs: 52
; NumAgprs: 0
; TotalNumVgprs: 52
; ScratchSize: 0
; MemoryBound: 0
	.text
	.p2align	2                               ; -- Begin function __ockl_printf_append_args
	.type	__ockl_printf_append_args,@function
__ockl_printf_append_args:              ; @__ockl_printf_append_args
; %bb.0:
	s_waitcnt vmcnt(0) expcnt(0) lgkmcnt(0)
	s_load_dwordx2 s[2:3], s[8:9], 0x50
	v_mbcnt_lo_u32_b32 v5, -1, 0
	v_mbcnt_hi_u32_b32 v5, -1, v5
	v_mov_b64_e32 v[10:11], 0
	v_readfirstlane_b32 s0, v5
	s_nop 1
	v_cmp_eq_u32_e64 s[0:1], s0, v5
	s_and_saveexec_b64 s[4:5], s[0:1]
	s_cbranch_execz .LBB2_6
; %bb.1:
	v_mov_b32_e32 v6, 0
	s_waitcnt lgkmcnt(0)
	global_load_dwordx2 v[12:13], v6, s[2:3] offset:24 sc0 sc1
	s_waitcnt vmcnt(0)
	buffer_inv sc0 sc1
	global_load_dwordx2 v[8:9], v6, s[2:3] offset:40
	global_load_dwordx2 v[10:11], v6, s[2:3]
	s_waitcnt vmcnt(1)
	v_and_b32_e32 v7, v8, v12
	v_and_b32_e32 v8, v9, v13
	v_mul_lo_u32 v8, v8, 24
	v_mul_hi_u32 v9, v7, 24
	v_add_u32_e32 v9, v9, v8
	v_mul_lo_u32 v8, v7, 24
	s_waitcnt vmcnt(0)
	v_lshl_add_u64 v[8:9], v[10:11], 0, v[8:9]
	global_load_dwordx2 v[10:11], v[8:9], off sc0 sc1
	s_waitcnt vmcnt(0)
	global_atomic_cmpswap_x2 v[10:11], v6, v[10:13], s[2:3] offset:24 sc0 sc1
	s_waitcnt vmcnt(0)
	buffer_inv sc0 sc1
	v_cmp_ne_u64_e32 vcc, v[10:11], v[12:13]
	s_and_saveexec_b64 s[6:7], vcc
	s_cbranch_execz .LBB2_5
; %bb.2:
	s_mov_b64 s[8:9], 0
.LBB2_3:                                ; =>This Inner Loop Header: Depth=1
	s_sleep 1
	global_load_dwordx2 v[8:9], v6, s[2:3] offset:40
	global_load_dwordx2 v[14:15], v6, s[2:3]
	v_mov_b64_e32 v[12:13], v[10:11]
	s_waitcnt vmcnt(1)
	v_and_b32_e32 v8, v8, v12
	v_and_b32_e32 v7, v9, v13
	s_waitcnt vmcnt(0)
	v_mad_u64_u32 v[8:9], s[10:11], v8, 24, v[14:15]
	v_mov_b32_e32 v10, v9
	v_mad_u64_u32 v[10:11], s[10:11], v7, 24, v[10:11]
	v_mov_b32_e32 v9, v10
	global_load_dwordx2 v[10:11], v[8:9], off sc0 sc1
	s_waitcnt vmcnt(0)
	global_atomic_cmpswap_x2 v[10:11], v6, v[10:13], s[2:3] offset:24 sc0 sc1
	s_waitcnt vmcnt(0)
	buffer_inv sc0 sc1
	v_cmp_eq_u64_e32 vcc, v[10:11], v[12:13]
	s_or_b64 s[8:9], vcc, s[8:9]
	s_andn2_b64 exec, exec, s[8:9]
	s_cbranch_execnz .LBB2_3
; %bb.4:
	s_or_b64 exec, exec, s[8:9]
.LBB2_5:
	s_or_b64 exec, exec, s[6:7]
.LBB2_6:
	s_or_b64 exec, exec, s[4:5]
	v_mov_b32_e32 v14, 0
	s_waitcnt lgkmcnt(0)
	global_load_dwordx2 v[12:13], v14, s[2:3] offset:40
	global_load_dwordx4 v[6:9], v14, s[2:3]
	v_readfirstlane_b32 s5, v11
	v_readfirstlane_b32 s4, v10
	s_mov_b64 s[6:7], exec
	s_waitcnt vmcnt(1)
	v_readfirstlane_b32 s8, v12
	v_readfirstlane_b32 s9, v13
	s_and_b64 s[8:9], s[8:9], s[4:5]
	s_mul_i32 s10, s9, 24
	s_mul_hi_u32 s11, s8, 24
	s_add_i32 s11, s11, s10
	s_mul_i32 s10, s8, 24
	s_waitcnt vmcnt(0)
	v_lshl_add_u64 v[10:11], v[6:7], 0, s[10:11]
	s_and_saveexec_b64 s[10:11], s[0:1]
	s_cbranch_execz .LBB2_8
; %bb.7:
	v_mov_b64_e32 v[12:13], s[6:7]
	v_mov_b32_e32 v14, 2
	v_mov_b32_e32 v15, 1
	global_store_dwordx4 v[10:11], v[12:15], off offset:8
.LBB2_8:
	s_or_b64 exec, exec, s[10:11]
	s_lshl_b64 s[6:7], s[8:9], 12
	v_or_b32_e32 v12, 2, v0
	v_cmp_eq_u32_e32 vcc, 0, v4
	v_lshl_add_u64 v[8:9], v[8:9], 0, s[6:7]
	s_mov_b32 s8, 0
	v_cndmask_b32_e32 v0, v12, v0, vcc
	s_movk_i32 s6, 0xff1f
	v_and_or_b32 v0, v0, s6, 32
	v_lshlrev_b32_e32 v4, 6, v5
	v_readfirstlane_b32 s6, v8
	v_readfirstlane_b32 s7, v9
	s_mov_b32 s9, s8
	s_mov_b32 s10, s8
	s_mov_b32 s11, s8
	s_nop 1
	global_store_dwordx4 v4, v[0:3], s[6:7]
	s_nop 1
	v_mov_b64_e32 v[0:1], s[8:9]
	v_mov_b64_e32 v[2:3], s[10:11]
	global_store_dwordx4 v4, v[0:3], s[6:7] offset:16
	global_store_dwordx4 v4, v[0:3], s[6:7] offset:32
	;; [unrolled: 1-line block ×3, first 2 shown]
	s_and_saveexec_b64 s[6:7], s[0:1]
	s_cbranch_execz .LBB2_16
; %bb.9:
	v_mov_b32_e32 v8, 0
	global_load_dwordx2 v[14:15], v8, s[2:3] offset:32 sc0 sc1
	global_load_dwordx2 v[0:1], v8, s[2:3] offset:40
	v_mov_b32_e32 v12, s4
	v_mov_b32_e32 v13, s5
	s_waitcnt vmcnt(0)
	v_and_b32_e32 v0, s4, v0
	v_and_b32_e32 v1, s5, v1
	v_mul_lo_u32 v1, v1, 24
	v_mul_hi_u32 v2, v0, 24
	v_mul_lo_u32 v0, v0, 24
	v_add_u32_e32 v1, v2, v1
	v_lshl_add_u64 v[4:5], v[6:7], 0, v[0:1]
	global_store_dwordx2 v[4:5], v[14:15], off
	buffer_wbl2 sc0 sc1
	s_waitcnt vmcnt(0)
	global_atomic_cmpswap_x2 v[2:3], v8, v[12:15], s[2:3] offset:32 sc0 sc1
	s_waitcnt vmcnt(0)
	v_cmp_ne_u64_e32 vcc, v[2:3], v[14:15]
	s_and_saveexec_b64 s[8:9], vcc
	s_cbranch_execz .LBB2_12
; %bb.10:
	s_mov_b64 s[10:11], 0
.LBB2_11:                               ; =>This Inner Loop Header: Depth=1
	s_sleep 1
	global_store_dwordx2 v[4:5], v[2:3], off
	v_mov_b32_e32 v0, s4
	v_mov_b32_e32 v1, s5
	buffer_wbl2 sc0 sc1
	s_waitcnt vmcnt(0)
	global_atomic_cmpswap_x2 v[0:1], v8, v[0:3], s[2:3] offset:32 sc0 sc1
	s_waitcnt vmcnt(0)
	v_cmp_eq_u64_e32 vcc, v[0:1], v[2:3]
	s_or_b64 s[10:11], vcc, s[10:11]
	v_mov_b64_e32 v[2:3], v[0:1]
	s_andn2_b64 exec, exec, s[10:11]
	s_cbranch_execnz .LBB2_11
.LBB2_12:
	s_or_b64 exec, exec, s[8:9]
	v_mov_b32_e32 v3, 0
	global_load_dwordx2 v[0:1], v3, s[2:3] offset:16
	s_mov_b64 s[8:9], exec
	v_mbcnt_lo_u32_b32 v2, s8, 0
	v_mbcnt_hi_u32_b32 v2, s9, v2
	v_cmp_eq_u32_e32 vcc, 0, v2
	s_and_saveexec_b64 s[10:11], vcc
	s_cbranch_execz .LBB2_14
; %bb.13:
	s_bcnt1_i32_b64 s8, s[8:9]
	v_mov_b32_e32 v2, s8
	buffer_wbl2 sc0 sc1
	s_waitcnt vmcnt(0)
	global_atomic_add_x2 v[0:1], v[2:3], off offset:8 sc1
.LBB2_14:
	s_or_b64 exec, exec, s[10:11]
	s_waitcnt vmcnt(0)
	global_load_dwordx2 v[2:3], v[0:1], off offset:16
	s_waitcnt vmcnt(0)
	v_cmp_eq_u64_e32 vcc, 0, v[2:3]
	s_cbranch_vccnz .LBB2_16
; %bb.15:
	global_load_dword v0, v[0:1], off offset:24
	v_mov_b32_e32 v1, 0
	s_waitcnt vmcnt(0)
	v_readfirstlane_b32 s8, v0
	s_and_b32 m0, s8, 0xffffff
	buffer_wbl2 sc0 sc1
	global_store_dwordx2 v[2:3], v[0:1], off sc0 sc1
	s_sendmsg sendmsg(MSG_INTERRUPT)
.LBB2_16:
	s_or_b64 exec, exec, s[6:7]
	s_branch .LBB2_20
.LBB2_17:                               ;   in Loop: Header=BB2_20 Depth=1
	s_or_b64 exec, exec, s[6:7]
	v_readfirstlane_b32 s6, v0
	s_cmp_eq_u32 s6, 0
	s_cbranch_scc1 .LBB2_19
; %bb.18:                               ;   in Loop: Header=BB2_20 Depth=1
	s_sleep 1
	s_cbranch_execnz .LBB2_20
	s_branch .LBB2_22
.LBB2_19:
	s_branch .LBB2_22
.LBB2_20:                               ; =>This Inner Loop Header: Depth=1
	v_mov_b32_e32 v0, 1
	s_and_saveexec_b64 s[6:7], s[0:1]
	s_cbranch_execz .LBB2_17
; %bb.21:                               ;   in Loop: Header=BB2_20 Depth=1
	global_load_dword v0, v[10:11], off offset:20 sc0 sc1
	s_waitcnt vmcnt(0)
	buffer_inv sc0 sc1
	v_and_b32_e32 v0, 1, v0
	s_branch .LBB2_17
.LBB2_22:
	s_and_saveexec_b64 s[6:7], s[0:1]
	s_cbranch_execz .LBB2_25
; %bb.23:
	v_mov_b32_e32 v6, 0
	global_load_dwordx2 v[0:1], v6, s[2:3] offset:40
	global_load_dwordx2 v[10:11], v6, s[2:3] offset:24 sc0 sc1
	global_load_dwordx2 v[2:3], v6, s[2:3]
	s_waitcnt vmcnt(2)
	v_readfirstlane_b32 s8, v0
	v_readfirstlane_b32 s9, v1
	s_add_u32 s10, s8, 1
	s_addc_u32 s11, s9, 0
	s_add_u32 s0, s10, s4
	s_addc_u32 s1, s11, s5
	s_cmp_eq_u64 s[0:1], 0
	s_cselect_b32 s1, s11, s1
	s_cselect_b32 s0, s10, s0
	s_and_b64 s[4:5], s[0:1], s[8:9]
	s_mul_i32 s5, s5, 24
	s_mul_hi_u32 s8, s4, 24
	s_mul_i32 s4, s4, 24
	s_add_i32 s5, s8, s5
	s_waitcnt vmcnt(0)
	v_lshl_add_u64 v[4:5], v[2:3], 0, s[4:5]
	v_mov_b32_e32 v8, s0
	global_store_dwordx2 v[4:5], v[10:11], off
	v_mov_b32_e32 v9, s1
	buffer_wbl2 sc0 sc1
	s_waitcnt vmcnt(0)
	global_atomic_cmpswap_x2 v[2:3], v6, v[8:11], s[2:3] offset:24 sc0 sc1
	s_mov_b64 s[4:5], 0
	s_waitcnt vmcnt(0)
	v_cmp_ne_u64_e32 vcc, v[2:3], v[10:11]
	s_and_b64 exec, exec, vcc
	s_cbranch_execz .LBB2_25
.LBB2_24:                               ; =>This Inner Loop Header: Depth=1
	s_sleep 1
	global_store_dwordx2 v[4:5], v[2:3], off
	v_mov_b32_e32 v0, s0
	v_mov_b32_e32 v1, s1
	buffer_wbl2 sc0 sc1
	s_waitcnt vmcnt(0)
	global_atomic_cmpswap_x2 v[0:1], v6, v[0:3], s[2:3] offset:24 sc0 sc1
	s_waitcnt vmcnt(0)
	v_cmp_eq_u64_e32 vcc, v[0:1], v[2:3]
	s_or_b64 s[4:5], vcc, s[4:5]
	v_mov_b64_e32 v[2:3], v[0:1]
	s_andn2_b64 exec, exec, s[4:5]
	s_cbranch_execnz .LBB2_24
.LBB2_25:
	s_or_b64 exec, exec, s[6:7]
	s_waitcnt vmcnt(0) lgkmcnt(0)
	s_setpc_b64 s[30:31]
.Lfunc_end2:
	.size	__ockl_printf_append_args, .Lfunc_end2-__ockl_printf_append_args
                                        ; -- End function
	.set .L__ockl_printf_append_args.num_vgpr, 16
	.set .L__ockl_printf_append_args.num_agpr, 0
	.set .L__ockl_printf_append_args.numbered_sgpr, 32
	.set .L__ockl_printf_append_args.num_named_barrier, 0
	.set .L__ockl_printf_append_args.private_seg_size, 0
	.set .L__ockl_printf_append_args.uses_vcc, 1
	.set .L__ockl_printf_append_args.uses_flat_scratch, 0
	.set .L__ockl_printf_append_args.has_dyn_sized_stack, 0
	.set .L__ockl_printf_append_args.has_recursion, 0
	.set .L__ockl_printf_append_args.has_indirect_call, 0
	.section	.AMDGPU.csdata,"",@progbits
; Function info:
; codeLenInByte = 1216
; TotalNumSgprs: 38
; NumVgprs: 16
; NumAgprs: 0
; TotalNumVgprs: 16
; ScratchSize: 0
; MemoryBound: 0
	.text
	.p2align	2                               ; -- Begin function _ZL14no_device_codePKciS0_iS0_
	.type	_ZL14no_device_codePKciS0_iS0_,@function
_ZL14no_device_codePKciS0_iS0_:         ; @_ZL14no_device_codePKciS0_iS0_
; %bb.0:
	s_waitcnt vmcnt(0) expcnt(0) lgkmcnt(0)
	s_mov_b32 s20, s33
	s_mov_b32 s33, s32
	s_or_saveexec_b64 s[0:1], -1
	scratch_store_dword off, v40, s33       ; 4-byte Folded Spill
	s_mov_b64 exec, s[0:1]
	v_writelane_b32 v40, s30, 0
	s_add_i32 s32, s32, 16
	s_nop 0
	v_writelane_b32 v40, s31, 1
	s_load_dwordx2 s[2:3], s[8:9], 0x50
	v_mbcnt_lo_u32_b32 v1, -1, 0
	v_mbcnt_hi_u32_b32 v1, -1, v1
	v_mov_b64_e32 v[6:7], 0
	v_readfirstlane_b32 s0, v1
	s_nop 1
	v_cmp_eq_u32_e64 s[0:1], s0, v1
	s_and_saveexec_b64 s[4:5], s[0:1]
	s_cbranch_execz .LBB3_6
; %bb.1:
	v_mov_b32_e32 v2, 0
	s_waitcnt lgkmcnt(0)
	global_load_dwordx2 v[8:9], v2, s[2:3] offset:24 sc0 sc1
	s_waitcnt vmcnt(0)
	buffer_inv sc0 sc1
	global_load_dwordx2 v[4:5], v2, s[2:3] offset:40
	global_load_dwordx2 v[6:7], v2, s[2:3]
	s_waitcnt vmcnt(1)
	v_and_b32_e32 v3, v4, v8
	v_and_b32_e32 v4, v5, v9
	v_mul_lo_u32 v4, v4, 24
	v_mul_hi_u32 v5, v3, 24
	v_add_u32_e32 v5, v5, v4
	v_mul_lo_u32 v4, v3, 24
	s_waitcnt vmcnt(0)
	v_lshl_add_u64 v[4:5], v[6:7], 0, v[4:5]
	global_load_dwordx2 v[6:7], v[4:5], off sc0 sc1
	s_waitcnt vmcnt(0)
	global_atomic_cmpswap_x2 v[6:7], v2, v[6:9], s[2:3] offset:24 sc0 sc1
	s_waitcnt vmcnt(0)
	buffer_inv sc0 sc1
	v_cmp_ne_u64_e32 vcc, v[6:7], v[8:9]
	s_and_saveexec_b64 s[6:7], vcc
	s_cbranch_execz .LBB3_5
; %bb.2:
	s_mov_b64 s[10:11], 0
.LBB3_3:                                ; =>This Inner Loop Header: Depth=1
	s_sleep 1
	global_load_dwordx2 v[4:5], v2, s[2:3] offset:40
	global_load_dwordx2 v[10:11], v2, s[2:3]
	v_mov_b64_e32 v[8:9], v[6:7]
	s_waitcnt vmcnt(1)
	v_and_b32_e32 v4, v4, v8
	v_and_b32_e32 v3, v5, v9
	s_waitcnt vmcnt(0)
	v_mad_u64_u32 v[4:5], s[12:13], v4, 24, v[10:11]
	v_mov_b32_e32 v6, v5
	v_mad_u64_u32 v[6:7], s[12:13], v3, 24, v[6:7]
	v_mov_b32_e32 v5, v6
	global_load_dwordx2 v[6:7], v[4:5], off sc0 sc1
	s_waitcnt vmcnt(0)
	global_atomic_cmpswap_x2 v[6:7], v2, v[6:9], s[2:3] offset:24 sc0 sc1
	s_waitcnt vmcnt(0)
	buffer_inv sc0 sc1
	v_cmp_eq_u64_e32 vcc, v[6:7], v[8:9]
	s_or_b64 s[10:11], vcc, s[10:11]
	s_andn2_b64 exec, exec, s[10:11]
	s_cbranch_execnz .LBB3_3
; %bb.4:
	s_or_b64 exec, exec, s[10:11]
.LBB3_5:
	s_or_b64 exec, exec, s[6:7]
.LBB3_6:
	s_or_b64 exec, exec, s[4:5]
	v_mov_b32_e32 v25, 0
	s_waitcnt lgkmcnt(0)
	global_load_dwordx2 v[8:9], v25, s[2:3] offset:40
	global_load_dwordx4 v[2:5], v25, s[2:3]
	v_readfirstlane_b32 s5, v7
	v_readfirstlane_b32 s4, v6
	s_mov_b64 s[6:7], exec
	s_waitcnt vmcnt(1)
	v_readfirstlane_b32 s10, v8
	v_readfirstlane_b32 s11, v9
	s_and_b64 s[10:11], s[10:11], s[4:5]
	s_mul_i32 s12, s11, 24
	s_mul_hi_u32 s13, s10, 24
	s_add_i32 s13, s13, s12
	s_mul_i32 s12, s10, 24
	s_waitcnt vmcnt(0)
	v_lshl_add_u64 v[6:7], v[2:3], 0, s[12:13]
	s_and_saveexec_b64 s[12:13], s[0:1]
	s_cbranch_execz .LBB3_8
; %bb.7:
	v_mov_b64_e32 v[8:9], s[6:7]
	v_mov_b32_e32 v10, 2
	v_mov_b32_e32 v11, 1
	global_store_dwordx4 v[6:7], v[8:11], off offset:8
.LBB3_8:
	s_or_b64 exec, exec, s[12:13]
	s_lshl_b64 s[6:7], s[10:11], 12
	v_lshl_add_u64 v[8:9], v[4:5], 0, s[6:7]
	s_mov_b32 s12, 0
	v_lshlrev_b32_e32 v24, 6, v1
	v_mov_b32_e32 v10, 33
	v_mov_b32_e32 v11, v25
	;; [unrolled: 1-line block ×4, first 2 shown]
	v_readfirstlane_b32 s6, v8
	v_readfirstlane_b32 s7, v9
	s_mov_b32 s13, s12
	s_mov_b32 s14, s12
	;; [unrolled: 1-line block ×3, first 2 shown]
	s_nop 1
	global_store_dwordx4 v24, v[10:13], s[6:7]
	s_nop 1
	v_mov_b64_e32 v[10:11], s[12:13]
	v_mov_b64_e32 v[12:13], s[14:15]
	global_store_dwordx4 v24, v[10:13], s[6:7] offset:16
	global_store_dwordx4 v24, v[10:13], s[6:7] offset:32
	global_store_dwordx4 v24, v[10:13], s[6:7] offset:48
	s_and_saveexec_b64 s[6:7], s[0:1]
	s_cbranch_execz .LBB3_16
; %bb.9:
	v_mov_b32_e32 v12, 0
	global_load_dwordx2 v[16:17], v12, s[2:3] offset:32 sc0 sc1
	global_load_dwordx2 v[4:5], v12, s[2:3] offset:40
	v_mov_b32_e32 v14, s4
	v_mov_b32_e32 v15, s5
	s_waitcnt vmcnt(0)
	v_and_b32_e32 v4, s4, v4
	v_and_b32_e32 v5, s5, v5
	v_mul_lo_u32 v5, v5, 24
	v_mul_hi_u32 v10, v4, 24
	v_mul_lo_u32 v4, v4, 24
	v_add_u32_e32 v5, v10, v5
	v_lshl_add_u64 v[10:11], v[2:3], 0, v[4:5]
	global_store_dwordx2 v[10:11], v[16:17], off
	buffer_wbl2 sc0 sc1
	s_waitcnt vmcnt(0)
	global_atomic_cmpswap_x2 v[4:5], v12, v[14:17], s[2:3] offset:32 sc0 sc1
	s_waitcnt vmcnt(0)
	v_cmp_ne_u64_e32 vcc, v[4:5], v[16:17]
	s_and_saveexec_b64 s[10:11], vcc
	s_cbranch_execz .LBB3_12
; %bb.10:
	s_mov_b64 s[12:13], 0
.LBB3_11:                               ; =>This Inner Loop Header: Depth=1
	s_sleep 1
	global_store_dwordx2 v[10:11], v[4:5], off
	v_mov_b32_e32 v2, s4
	v_mov_b32_e32 v3, s5
	buffer_wbl2 sc0 sc1
	s_waitcnt vmcnt(0)
	global_atomic_cmpswap_x2 v[2:3], v12, v[2:5], s[2:3] offset:32 sc0 sc1
	s_waitcnt vmcnt(0)
	v_cmp_eq_u64_e32 vcc, v[2:3], v[4:5]
	s_or_b64 s[12:13], vcc, s[12:13]
	v_mov_b64_e32 v[4:5], v[2:3]
	s_andn2_b64 exec, exec, s[12:13]
	s_cbranch_execnz .LBB3_11
.LBB3_12:
	s_or_b64 exec, exec, s[10:11]
	v_mov_b32_e32 v5, 0
	global_load_dwordx2 v[2:3], v5, s[2:3] offset:16
	s_mov_b64 s[10:11], exec
	v_mbcnt_lo_u32_b32 v4, s10, 0
	v_mbcnt_hi_u32_b32 v4, s11, v4
	v_cmp_eq_u32_e32 vcc, 0, v4
	s_and_saveexec_b64 s[12:13], vcc
	s_cbranch_execz .LBB3_14
; %bb.13:
	s_bcnt1_i32_b64 s10, s[10:11]
	v_mov_b32_e32 v4, s10
	buffer_wbl2 sc0 sc1
	s_waitcnt vmcnt(0)
	global_atomic_add_x2 v[2:3], v[4:5], off offset:8 sc1
.LBB3_14:
	s_or_b64 exec, exec, s[12:13]
	s_waitcnt vmcnt(0)
	global_load_dwordx2 v[4:5], v[2:3], off offset:16
	s_waitcnt vmcnt(0)
	v_cmp_eq_u64_e32 vcc, 0, v[4:5]
	s_cbranch_vccnz .LBB3_16
; %bb.15:
	global_load_dword v2, v[2:3], off offset:24
	v_mov_b32_e32 v3, 0
	s_waitcnt vmcnt(0)
	v_readfirstlane_b32 s10, v2
	s_and_b32 m0, s10, 0xffffff
	buffer_wbl2 sc0 sc1
	global_store_dwordx2 v[4:5], v[2:3], off sc0 sc1
	s_sendmsg sendmsg(MSG_INTERRUPT)
.LBB3_16:
	s_or_b64 exec, exec, s[6:7]
	v_lshl_add_u64 v[2:3], v[8:9], 0, v[24:25]
	s_branch .LBB3_20
.LBB3_17:                               ;   in Loop: Header=BB3_20 Depth=1
	s_or_b64 exec, exec, s[6:7]
	v_readfirstlane_b32 s6, v4
	s_cmp_eq_u32 s6, 0
	s_cbranch_scc1 .LBB3_19
; %bb.18:                               ;   in Loop: Header=BB3_20 Depth=1
	s_sleep 1
	s_cbranch_execnz .LBB3_20
	s_branch .LBB3_22
.LBB3_19:
	s_branch .LBB3_22
.LBB3_20:                               ; =>This Inner Loop Header: Depth=1
	v_mov_b32_e32 v4, 1
	s_and_saveexec_b64 s[6:7], s[0:1]
	s_cbranch_execz .LBB3_17
; %bb.21:                               ;   in Loop: Header=BB3_20 Depth=1
	global_load_dword v4, v[6:7], off offset:20 sc0 sc1
	s_waitcnt vmcnt(0)
	buffer_inv sc0 sc1
	v_and_b32_e32 v4, 1, v4
	s_branch .LBB3_17
.LBB3_22:
	global_load_dwordx2 v[6:7], v[2:3], off
	s_and_saveexec_b64 s[6:7], s[0:1]
	s_cbranch_execz .LBB3_25
; %bb.23:
	v_mov_b32_e32 v10, 0
	global_load_dwordx2 v[2:3], v10, s[2:3] offset:40
	global_load_dwordx2 v[14:15], v10, s[2:3] offset:24 sc0 sc1
	global_load_dwordx2 v[4:5], v10, s[2:3]
	s_waitcnt vmcnt(2)
	v_readfirstlane_b32 s10, v2
	v_readfirstlane_b32 s11, v3
	s_add_u32 s12, s10, 1
	s_addc_u32 s13, s11, 0
	s_add_u32 s0, s12, s4
	s_addc_u32 s1, s13, s5
	s_cmp_eq_u64 s[0:1], 0
	s_cselect_b32 s1, s13, s1
	s_cselect_b32 s0, s12, s0
	s_and_b64 s[4:5], s[0:1], s[10:11]
	s_mul_i32 s5, s5, 24
	s_mul_hi_u32 s10, s4, 24
	s_mul_i32 s4, s4, 24
	s_add_i32 s5, s10, s5
	s_waitcnt vmcnt(0)
	v_lshl_add_u64 v[8:9], v[4:5], 0, s[4:5]
	v_mov_b32_e32 v12, s0
	global_store_dwordx2 v[8:9], v[14:15], off
	v_mov_b32_e32 v13, s1
	buffer_wbl2 sc0 sc1
	s_waitcnt vmcnt(0)
	global_atomic_cmpswap_x2 v[4:5], v10, v[12:15], s[2:3] offset:24 sc0 sc1
	s_mov_b64 s[4:5], 0
	s_waitcnt vmcnt(0)
	v_cmp_ne_u64_e32 vcc, v[4:5], v[14:15]
	s_and_b64 exec, exec, vcc
	s_cbranch_execz .LBB3_25
.LBB3_24:                               ; =>This Inner Loop Header: Depth=1
	s_sleep 1
	global_store_dwordx2 v[8:9], v[4:5], off
	v_mov_b32_e32 v2, s0
	v_mov_b32_e32 v3, s1
	buffer_wbl2 sc0 sc1
	s_waitcnt vmcnt(0)
	global_atomic_cmpswap_x2 v[2:3], v10, v[2:5], s[2:3] offset:24 sc0 sc1
	s_waitcnt vmcnt(0)
	v_cmp_eq_u64_e32 vcc, v[2:3], v[4:5]
	s_or_b64 s[4:5], vcc, s[4:5]
	v_mov_b64_e32 v[4:5], v[2:3]
	s_andn2_b64 exec, exec, s[4:5]
	s_cbranch_execnz .LBB3_24
.LBB3_25:
	s_or_b64 exec, exec, s[6:7]
	s_getpc_b64 s[4:5]
	s_add_u32 s4, s4, .str.5@rel32@lo+4
	s_addc_u32 s5, s5, .str.5@rel32@hi+12
	s_cmp_lg_u64 s[4:5], 0
	s_cbranch_scc0 .LBB3_110
; %bb.26:
	s_waitcnt vmcnt(0)
	v_and_b32_e32 v26, 2, v6
	v_mov_b32_e32 v29, 0
	v_and_b32_e32 v2, -3, v6
	v_mov_b32_e32 v3, v7
	s_mov_b64 s[6:7], 0x4d
	v_mov_b32_e32 v34, 2
	v_mov_b32_e32 v35, 1
	s_branch .LBB3_28
.LBB3_27:                               ;   in Loop: Header=BB3_28 Depth=1
	s_or_b64 exec, exec, s[14:15]
	s_sub_u32 s6, s6, s10
	s_subb_u32 s7, s7, s11
	s_add_u32 s4, s4, s10
	s_addc_u32 s5, s5, s11
	s_cmp_lg_u64 s[6:7], 0
	s_cbranch_scc0 .LBB3_111
.LBB3_28:                               ; =>This Loop Header: Depth=1
                                        ;     Child Loop BB3_31 Depth 2
                                        ;     Child Loop BB3_39 Depth 2
	;; [unrolled: 1-line block ×11, first 2 shown]
	v_cmp_lt_u64_e64 s[0:1], s[6:7], 56
	s_and_b64 s[0:1], s[0:1], exec
	s_cselect_b32 s11, s7, 0
	s_cselect_b32 s10, s6, 56
	v_cmp_gt_u64_e64 s[12:13], s[6:7], 7
	s_add_u32 s0, s4, 8
	s_addc_u32 s1, s5, 0
	s_and_b64 vcc, exec, s[12:13]
	s_cbranch_vccnz .LBB3_32
; %bb.29:                               ;   in Loop: Header=BB3_28 Depth=1
	s_cmp_eq_u64 s[6:7], 0
	s_cbranch_scc1 .LBB3_33
; %bb.30:                               ;   in Loop: Header=BB3_28 Depth=1
	s_lshl_b64 s[0:1], s[10:11], 3
	s_mov_b64 s[12:13], 0
	v_mov_b64_e32 v[4:5], 0
	s_mov_b64 s[14:15], s[4:5]
.LBB3_31:                               ;   Parent Loop BB3_28 Depth=1
                                        ; =>  This Inner Loop Header: Depth=2
	global_load_ubyte v8, v29, s[14:15]
	s_waitcnt vmcnt(0)
	v_and_b32_e32 v28, 0xffff, v8
	v_lshlrev_b64 v[8:9], s12, v[28:29]
	s_add_u32 s12, s12, 8
	s_addc_u32 s13, s13, 0
	s_add_u32 s14, s14, 1
	s_addc_u32 s15, s15, 0
	v_or_b32_e32 v4, v8, v4
	s_cmp_lg_u32 s0, s12
	v_or_b32_e32 v5, v9, v5
	s_cbranch_scc1 .LBB3_31
	s_branch .LBB3_34
.LBB3_32:                               ;   in Loop: Header=BB3_28 Depth=1
	s_mov_b32 s16, 0
	s_branch .LBB3_35
.LBB3_33:                               ;   in Loop: Header=BB3_28 Depth=1
	v_mov_b64_e32 v[4:5], 0
.LBB3_34:                               ;   in Loop: Header=BB3_28 Depth=1
	s_mov_b64 s[0:1], s[4:5]
	s_mov_b32 s16, 0
	s_cbranch_execnz .LBB3_36
.LBB3_35:                               ;   in Loop: Header=BB3_28 Depth=1
	global_load_dwordx2 v[4:5], v29, s[4:5]
	s_add_i32 s16, s10, -8
.LBB3_36:                               ;   in Loop: Header=BB3_28 Depth=1
	s_add_u32 s12, s0, 8
	s_addc_u32 s13, s1, 0
	s_cmp_gt_u32 s16, 7
	s_cbranch_scc1 .LBB3_40
; %bb.37:                               ;   in Loop: Header=BB3_28 Depth=1
	s_cmp_eq_u32 s16, 0
	s_cbranch_scc1 .LBB3_41
; %bb.38:                               ;   in Loop: Header=BB3_28 Depth=1
	s_mov_b64 s[12:13], 0
	v_mov_b64_e32 v[8:9], 0
	s_mov_b64 s[14:15], 0
.LBB3_39:                               ;   Parent Loop BB3_28 Depth=1
                                        ; =>  This Inner Loop Header: Depth=2
	s_add_u32 s18, s0, s14
	s_addc_u32 s19, s1, s15
	global_load_ubyte v10, v29, s[18:19]
	s_add_u32 s14, s14, 1
	s_addc_u32 s15, s15, 0
	s_waitcnt vmcnt(0)
	v_and_b32_e32 v28, 0xffff, v10
	v_lshlrev_b64 v[10:11], s12, v[28:29]
	s_add_u32 s12, s12, 8
	s_addc_u32 s13, s13, 0
	v_or_b32_e32 v8, v10, v8
	s_cmp_lg_u32 s16, s14
	v_or_b32_e32 v9, v11, v9
	s_cbranch_scc1 .LBB3_39
	s_branch .LBB3_42
.LBB3_40:                               ;   in Loop: Header=BB3_28 Depth=1
                                        ; implicit-def: $vgpr8_vgpr9
	s_mov_b32 s17, 0
	s_branch .LBB3_43
.LBB3_41:                               ;   in Loop: Header=BB3_28 Depth=1
	v_mov_b64_e32 v[8:9], 0
.LBB3_42:                               ;   in Loop: Header=BB3_28 Depth=1
	s_mov_b64 s[12:13], s[0:1]
	s_mov_b32 s17, 0
	s_cbranch_execnz .LBB3_44
.LBB3_43:                               ;   in Loop: Header=BB3_28 Depth=1
	global_load_dwordx2 v[8:9], v29, s[0:1]
	s_add_i32 s17, s16, -8
.LBB3_44:                               ;   in Loop: Header=BB3_28 Depth=1
	s_add_u32 s0, s12, 8
	s_addc_u32 s1, s13, 0
	s_cmp_gt_u32 s17, 7
	s_cbranch_scc1 .LBB3_48
; %bb.45:                               ;   in Loop: Header=BB3_28 Depth=1
	s_cmp_eq_u32 s17, 0
	s_cbranch_scc1 .LBB3_49
; %bb.46:                               ;   in Loop: Header=BB3_28 Depth=1
	s_mov_b64 s[0:1], 0
	v_mov_b64_e32 v[10:11], 0
	s_mov_b64 s[14:15], 0
.LBB3_47:                               ;   Parent Loop BB3_28 Depth=1
                                        ; =>  This Inner Loop Header: Depth=2
	s_add_u32 s18, s12, s14
	s_addc_u32 s19, s13, s15
	global_load_ubyte v12, v29, s[18:19]
	s_add_u32 s14, s14, 1
	s_addc_u32 s15, s15, 0
	s_waitcnt vmcnt(0)
	v_and_b32_e32 v28, 0xffff, v12
	v_lshlrev_b64 v[12:13], s0, v[28:29]
	s_add_u32 s0, s0, 8
	s_addc_u32 s1, s1, 0
	v_or_b32_e32 v10, v12, v10
	s_cmp_lg_u32 s17, s14
	v_or_b32_e32 v11, v13, v11
	s_cbranch_scc1 .LBB3_47
	s_branch .LBB3_50
.LBB3_48:                               ;   in Loop: Header=BB3_28 Depth=1
	s_mov_b32 s16, 0
	s_branch .LBB3_51
.LBB3_49:                               ;   in Loop: Header=BB3_28 Depth=1
	v_mov_b64_e32 v[10:11], 0
.LBB3_50:                               ;   in Loop: Header=BB3_28 Depth=1
	s_mov_b64 s[0:1], s[12:13]
	s_mov_b32 s16, 0
	s_cbranch_execnz .LBB3_52
.LBB3_51:                               ;   in Loop: Header=BB3_28 Depth=1
	global_load_dwordx2 v[10:11], v29, s[12:13]
	s_add_i32 s16, s17, -8
.LBB3_52:                               ;   in Loop: Header=BB3_28 Depth=1
	s_add_u32 s12, s0, 8
	s_addc_u32 s13, s1, 0
	s_cmp_gt_u32 s16, 7
	s_cbranch_scc1 .LBB3_56
; %bb.53:                               ;   in Loop: Header=BB3_28 Depth=1
	s_cmp_eq_u32 s16, 0
	s_cbranch_scc1 .LBB3_57
; %bb.54:                               ;   in Loop: Header=BB3_28 Depth=1
	s_mov_b64 s[12:13], 0
	v_mov_b64_e32 v[12:13], 0
	s_mov_b64 s[14:15], 0
.LBB3_55:                               ;   Parent Loop BB3_28 Depth=1
                                        ; =>  This Inner Loop Header: Depth=2
	s_add_u32 s18, s0, s14
	s_addc_u32 s19, s1, s15
	global_load_ubyte v14, v29, s[18:19]
	s_add_u32 s14, s14, 1
	s_addc_u32 s15, s15, 0
	s_waitcnt vmcnt(0)
	v_and_b32_e32 v28, 0xffff, v14
	v_lshlrev_b64 v[14:15], s12, v[28:29]
	s_add_u32 s12, s12, 8
	s_addc_u32 s13, s13, 0
	v_or_b32_e32 v12, v14, v12
	s_cmp_lg_u32 s16, s14
	v_or_b32_e32 v13, v15, v13
	s_cbranch_scc1 .LBB3_55
	s_branch .LBB3_58
.LBB3_56:                               ;   in Loop: Header=BB3_28 Depth=1
                                        ; implicit-def: $vgpr12_vgpr13
	s_mov_b32 s17, 0
	s_branch .LBB3_59
.LBB3_57:                               ;   in Loop: Header=BB3_28 Depth=1
	v_mov_b64_e32 v[12:13], 0
.LBB3_58:                               ;   in Loop: Header=BB3_28 Depth=1
	s_mov_b64 s[12:13], s[0:1]
	s_mov_b32 s17, 0
	s_cbranch_execnz .LBB3_60
.LBB3_59:                               ;   in Loop: Header=BB3_28 Depth=1
	global_load_dwordx2 v[12:13], v29, s[0:1]
	s_add_i32 s17, s16, -8
.LBB3_60:                               ;   in Loop: Header=BB3_28 Depth=1
	s_add_u32 s0, s12, 8
	s_addc_u32 s1, s13, 0
	s_cmp_gt_u32 s17, 7
	s_cbranch_scc1 .LBB3_64
; %bb.61:                               ;   in Loop: Header=BB3_28 Depth=1
	s_cmp_eq_u32 s17, 0
	s_cbranch_scc1 .LBB3_65
; %bb.62:                               ;   in Loop: Header=BB3_28 Depth=1
	s_mov_b64 s[0:1], 0
	v_mov_b64_e32 v[14:15], 0
	s_mov_b64 s[14:15], 0
.LBB3_63:                               ;   Parent Loop BB3_28 Depth=1
                                        ; =>  This Inner Loop Header: Depth=2
	s_add_u32 s18, s12, s14
	s_addc_u32 s19, s13, s15
	global_load_ubyte v16, v29, s[18:19]
	s_add_u32 s14, s14, 1
	s_addc_u32 s15, s15, 0
	s_waitcnt vmcnt(0)
	v_and_b32_e32 v28, 0xffff, v16
	v_lshlrev_b64 v[16:17], s0, v[28:29]
	s_add_u32 s0, s0, 8
	s_addc_u32 s1, s1, 0
	v_or_b32_e32 v14, v16, v14
	s_cmp_lg_u32 s17, s14
	v_or_b32_e32 v15, v17, v15
	s_cbranch_scc1 .LBB3_63
	s_branch .LBB3_66
.LBB3_64:                               ;   in Loop: Header=BB3_28 Depth=1
	s_mov_b32 s16, 0
	s_branch .LBB3_67
.LBB3_65:                               ;   in Loop: Header=BB3_28 Depth=1
	v_mov_b64_e32 v[14:15], 0
.LBB3_66:                               ;   in Loop: Header=BB3_28 Depth=1
	s_mov_b64 s[0:1], s[12:13]
	s_mov_b32 s16, 0
	s_cbranch_execnz .LBB3_68
.LBB3_67:                               ;   in Loop: Header=BB3_28 Depth=1
	global_load_dwordx2 v[14:15], v29, s[12:13]
	s_add_i32 s16, s17, -8
.LBB3_68:                               ;   in Loop: Header=BB3_28 Depth=1
	s_add_u32 s12, s0, 8
	s_addc_u32 s13, s1, 0
	s_cmp_gt_u32 s16, 7
	s_cbranch_scc1 .LBB3_72
; %bb.69:                               ;   in Loop: Header=BB3_28 Depth=1
	s_cmp_eq_u32 s16, 0
	s_cbranch_scc1 .LBB3_73
; %bb.70:                               ;   in Loop: Header=BB3_28 Depth=1
	s_mov_b64 s[12:13], 0
	v_mov_b64_e32 v[16:17], 0
	s_mov_b64 s[14:15], 0
.LBB3_71:                               ;   Parent Loop BB3_28 Depth=1
                                        ; =>  This Inner Loop Header: Depth=2
	s_add_u32 s18, s0, s14
	s_addc_u32 s19, s1, s15
	global_load_ubyte v18, v29, s[18:19]
	s_add_u32 s14, s14, 1
	s_addc_u32 s15, s15, 0
	s_waitcnt vmcnt(0)
	v_and_b32_e32 v28, 0xffff, v18
	v_lshlrev_b64 v[18:19], s12, v[28:29]
	s_add_u32 s12, s12, 8
	s_addc_u32 s13, s13, 0
	v_or_b32_e32 v16, v18, v16
	s_cmp_lg_u32 s16, s14
	v_or_b32_e32 v17, v19, v17
	s_cbranch_scc1 .LBB3_71
	s_branch .LBB3_74
.LBB3_72:                               ;   in Loop: Header=BB3_28 Depth=1
                                        ; implicit-def: $vgpr16_vgpr17
	s_mov_b32 s17, 0
	s_branch .LBB3_75
.LBB3_73:                               ;   in Loop: Header=BB3_28 Depth=1
	v_mov_b64_e32 v[16:17], 0
.LBB3_74:                               ;   in Loop: Header=BB3_28 Depth=1
	s_mov_b64 s[12:13], s[0:1]
	s_mov_b32 s17, 0
	s_cbranch_execnz .LBB3_76
.LBB3_75:                               ;   in Loop: Header=BB3_28 Depth=1
	global_load_dwordx2 v[16:17], v29, s[0:1]
	s_add_i32 s17, s16, -8
.LBB3_76:                               ;   in Loop: Header=BB3_28 Depth=1
	s_cmp_gt_u32 s17, 7
	s_cbranch_scc1 .LBB3_80
; %bb.77:                               ;   in Loop: Header=BB3_28 Depth=1
	s_cmp_eq_u32 s17, 0
	s_cbranch_scc1 .LBB3_81
; %bb.78:                               ;   in Loop: Header=BB3_28 Depth=1
	s_mov_b64 s[0:1], 0
	v_mov_b64_e32 v[18:19], 0
	s_mov_b64 s[14:15], s[12:13]
.LBB3_79:                               ;   Parent Loop BB3_28 Depth=1
                                        ; =>  This Inner Loop Header: Depth=2
	global_load_ubyte v20, v29, s[14:15]
	s_add_i32 s17, s17, -1
	s_waitcnt vmcnt(0)
	v_and_b32_e32 v28, 0xffff, v20
	v_lshlrev_b64 v[20:21], s0, v[28:29]
	s_add_u32 s0, s0, 8
	s_addc_u32 s1, s1, 0
	s_add_u32 s14, s14, 1
	s_addc_u32 s15, s15, 0
	v_or_b32_e32 v18, v20, v18
	s_cmp_lg_u32 s17, 0
	v_or_b32_e32 v19, v21, v19
	s_cbranch_scc1 .LBB3_79
	s_branch .LBB3_82
.LBB3_80:                               ;   in Loop: Header=BB3_28 Depth=1
	s_branch .LBB3_83
.LBB3_81:                               ;   in Loop: Header=BB3_28 Depth=1
	v_mov_b64_e32 v[18:19], 0
.LBB3_82:                               ;   in Loop: Header=BB3_28 Depth=1
	s_cbranch_execnz .LBB3_84
.LBB3_83:                               ;   in Loop: Header=BB3_28 Depth=1
	global_load_dwordx2 v[18:19], v29, s[12:13]
.LBB3_84:                               ;   in Loop: Header=BB3_28 Depth=1
	v_readfirstlane_b32 s0, v1
	v_mov_b64_e32 v[30:31], 0
	s_nop 0
	v_cmp_eq_u32_e64 s[0:1], s0, v1
	s_and_saveexec_b64 s[12:13], s[0:1]
	s_cbranch_execz .LBB3_90
; %bb.85:                               ;   in Loop: Header=BB3_28 Depth=1
	global_load_dwordx2 v[22:23], v29, s[2:3] offset:24 sc0 sc1
	s_waitcnt vmcnt(0)
	buffer_inv sc0 sc1
	global_load_dwordx2 v[20:21], v29, s[2:3] offset:40
	global_load_dwordx2 v[30:31], v29, s[2:3]
	s_waitcnt vmcnt(1)
	v_and_b32_e32 v20, v20, v22
	v_and_b32_e32 v21, v21, v23
	v_mul_lo_u32 v21, v21, 24
	v_mul_hi_u32 v25, v20, 24
	v_add_u32_e32 v21, v25, v21
	v_mul_lo_u32 v20, v20, 24
	s_waitcnt vmcnt(0)
	v_lshl_add_u64 v[20:21], v[30:31], 0, v[20:21]
	global_load_dwordx2 v[20:21], v[20:21], off sc0 sc1
	s_waitcnt vmcnt(0)
	global_atomic_cmpswap_x2 v[30:31], v29, v[20:23], s[2:3] offset:24 sc0 sc1
	s_waitcnt vmcnt(0)
	buffer_inv sc0 sc1
	v_cmp_ne_u64_e32 vcc, v[30:31], v[22:23]
	s_and_saveexec_b64 s[14:15], vcc
	s_cbranch_execz .LBB3_89
; %bb.86:                               ;   in Loop: Header=BB3_28 Depth=1
	s_mov_b64 s[16:17], 0
.LBB3_87:                               ;   Parent Loop BB3_28 Depth=1
                                        ; =>  This Inner Loop Header: Depth=2
	s_sleep 1
	global_load_dwordx2 v[20:21], v29, s[2:3] offset:40
	global_load_dwordx2 v[32:33], v29, s[2:3]
	v_mov_b64_e32 v[22:23], v[30:31]
	s_waitcnt vmcnt(1)
	v_and_b32_e32 v20, v20, v22
	v_and_b32_e32 v25, v21, v23
	s_waitcnt vmcnt(0)
	v_mad_u64_u32 v[20:21], s[18:19], v20, 24, v[32:33]
	v_mov_b32_e32 v28, v21
	v_mad_u64_u32 v[30:31], s[18:19], v25, 24, v[28:29]
	v_mov_b32_e32 v21, v30
	global_load_dwordx2 v[20:21], v[20:21], off sc0 sc1
	s_waitcnt vmcnt(0)
	global_atomic_cmpswap_x2 v[30:31], v29, v[20:23], s[2:3] offset:24 sc0 sc1
	s_waitcnt vmcnt(0)
	buffer_inv sc0 sc1
	v_cmp_eq_u64_e32 vcc, v[30:31], v[22:23]
	s_or_b64 s[16:17], vcc, s[16:17]
	s_andn2_b64 exec, exec, s[16:17]
	s_cbranch_execnz .LBB3_87
; %bb.88:                               ;   in Loop: Header=BB3_28 Depth=1
	s_or_b64 exec, exec, s[16:17]
.LBB3_89:                               ;   in Loop: Header=BB3_28 Depth=1
	s_or_b64 exec, exec, s[14:15]
.LBB3_90:                               ;   in Loop: Header=BB3_28 Depth=1
	s_or_b64 exec, exec, s[12:13]
	global_load_dwordx2 v[32:33], v29, s[2:3] offset:40
	global_load_dwordx4 v[20:23], v29, s[2:3]
	v_readfirstlane_b32 s13, v31
	v_readfirstlane_b32 s12, v30
	s_mov_b64 s[14:15], exec
	s_waitcnt vmcnt(1)
	v_readfirstlane_b32 s16, v32
	v_readfirstlane_b32 s17, v33
	s_and_b64 s[16:17], s[16:17], s[12:13]
	s_mul_i32 s18, s17, 24
	s_mul_hi_u32 s19, s16, 24
	s_add_i32 s19, s19, s18
	s_mul_i32 s18, s16, 24
	s_waitcnt vmcnt(0)
	v_lshl_add_u64 v[30:31], v[20:21], 0, s[18:19]
	s_and_saveexec_b64 s[18:19], s[0:1]
	s_cbranch_execz .LBB3_92
; %bb.91:                               ;   in Loop: Header=BB3_28 Depth=1
	v_mov_b64_e32 v[32:33], s[14:15]
	global_store_dwordx4 v[30:31], v[32:35], off offset:8
.LBB3_92:                               ;   in Loop: Header=BB3_28 Depth=1
	s_or_b64 exec, exec, s[18:19]
	s_lshl_b64 s[14:15], s[16:17], 12
	v_lshl_add_u64 v[22:23], v[22:23], 0, s[14:15]
	v_cmp_lt_u64_e64 vcc, s[6:7], 57
	s_lshl_b32 s14, s10, 2
	s_add_i32 s14, s14, 28
	v_cndmask_b32_e32 v25, 0, v26, vcc
	v_and_b32_e32 v2, 0xffffff1f, v2
	s_and_b32 s14, s14, 0x1e0
	v_or_b32_e32 v2, v2, v25
	v_or_b32_e32 v2, s14, v2
	v_readfirstlane_b32 s14, v22
	v_readfirstlane_b32 s15, v23
	s_nop 4
	global_store_dwordx4 v24, v[2:5], s[14:15]
	global_store_dwordx4 v24, v[8:11], s[14:15] offset:16
	global_store_dwordx4 v24, v[12:15], s[14:15] offset:32
	;; [unrolled: 1-line block ×3, first 2 shown]
	s_and_saveexec_b64 s[14:15], s[0:1]
	s_cbranch_execz .LBB3_100
; %bb.93:                               ;   in Loop: Header=BB3_28 Depth=1
	global_load_dwordx2 v[12:13], v29, s[2:3] offset:32 sc0 sc1
	global_load_dwordx2 v[2:3], v29, s[2:3] offset:40
	v_mov_b32_e32 v10, s12
	v_mov_b32_e32 v11, s13
	s_waitcnt vmcnt(0)
	v_readfirstlane_b32 s16, v2
	v_readfirstlane_b32 s17, v3
	s_and_b64 s[16:17], s[16:17], s[12:13]
	s_mul_i32 s17, s17, 24
	s_mul_hi_u32 s18, s16, 24
	s_mul_i32 s16, s16, 24
	s_add_i32 s17, s18, s17
	v_lshl_add_u64 v[8:9], v[20:21], 0, s[16:17]
	global_store_dwordx2 v[8:9], v[12:13], off
	buffer_wbl2 sc0 sc1
	s_waitcnt vmcnt(0)
	global_atomic_cmpswap_x2 v[4:5], v29, v[10:13], s[2:3] offset:32 sc0 sc1
	s_waitcnt vmcnt(0)
	v_cmp_ne_u64_e32 vcc, v[4:5], v[12:13]
	s_and_saveexec_b64 s[16:17], vcc
	s_cbranch_execz .LBB3_96
; %bb.94:                               ;   in Loop: Header=BB3_28 Depth=1
	s_mov_b64 s[18:19], 0
.LBB3_95:                               ;   Parent Loop BB3_28 Depth=1
                                        ; =>  This Inner Loop Header: Depth=2
	s_sleep 1
	global_store_dwordx2 v[8:9], v[4:5], off
	v_mov_b32_e32 v2, s12
	v_mov_b32_e32 v3, s13
	buffer_wbl2 sc0 sc1
	s_waitcnt vmcnt(0)
	global_atomic_cmpswap_x2 v[2:3], v29, v[2:5], s[2:3] offset:32 sc0 sc1
	s_waitcnt vmcnt(0)
	v_cmp_eq_u64_e32 vcc, v[2:3], v[4:5]
	s_or_b64 s[18:19], vcc, s[18:19]
	v_mov_b64_e32 v[4:5], v[2:3]
	s_andn2_b64 exec, exec, s[18:19]
	s_cbranch_execnz .LBB3_95
.LBB3_96:                               ;   in Loop: Header=BB3_28 Depth=1
	s_or_b64 exec, exec, s[16:17]
	global_load_dwordx2 v[2:3], v29, s[2:3] offset:16
	s_mov_b64 s[18:19], exec
	v_mbcnt_lo_u32_b32 v4, s18, 0
	v_mbcnt_hi_u32_b32 v4, s19, v4
	v_cmp_eq_u32_e32 vcc, 0, v4
	s_and_saveexec_b64 s[16:17], vcc
	s_cbranch_execz .LBB3_98
; %bb.97:                               ;   in Loop: Header=BB3_28 Depth=1
	s_bcnt1_i32_b64 s18, s[18:19]
	v_mov_b32_e32 v28, s18
	buffer_wbl2 sc0 sc1
	s_waitcnt vmcnt(0)
	global_atomic_add_x2 v[2:3], v[28:29], off offset:8 sc1
.LBB3_98:                               ;   in Loop: Header=BB3_28 Depth=1
	s_or_b64 exec, exec, s[16:17]
	s_waitcnt vmcnt(0)
	global_load_dwordx2 v[4:5], v[2:3], off offset:16
	s_waitcnt vmcnt(0)
	v_cmp_eq_u64_e32 vcc, 0, v[4:5]
	s_cbranch_vccnz .LBB3_100
; %bb.99:                               ;   in Loop: Header=BB3_28 Depth=1
	global_load_dword v28, v[2:3], off offset:24
	s_waitcnt vmcnt(0)
	v_readfirstlane_b32 s16, v28
	s_and_b32 m0, s16, 0xffffff
	buffer_wbl2 sc0 sc1
	global_store_dwordx2 v[4:5], v[28:29], off sc0 sc1
	s_sendmsg sendmsg(MSG_INTERRUPT)
.LBB3_100:                              ;   in Loop: Header=BB3_28 Depth=1
	s_or_b64 exec, exec, s[14:15]
	v_mov_b32_e32 v25, v29
	v_lshl_add_u64 v[2:3], v[22:23], 0, v[24:25]
	s_branch .LBB3_104
.LBB3_101:                              ;   in Loop: Header=BB3_104 Depth=2
	s_or_b64 exec, exec, s[14:15]
	v_readfirstlane_b32 s14, v4
	s_cmp_eq_u32 s14, 0
	s_cbranch_scc1 .LBB3_103
; %bb.102:                              ;   in Loop: Header=BB3_104 Depth=2
	s_sleep 1
	s_cbranch_execnz .LBB3_104
	s_branch .LBB3_106
.LBB3_103:                              ;   in Loop: Header=BB3_28 Depth=1
	s_branch .LBB3_106
.LBB3_104:                              ;   Parent Loop BB3_28 Depth=1
                                        ; =>  This Inner Loop Header: Depth=2
	v_mov_b32_e32 v4, 1
	s_and_saveexec_b64 s[14:15], s[0:1]
	s_cbranch_execz .LBB3_101
; %bb.105:                              ;   in Loop: Header=BB3_104 Depth=2
	global_load_dword v4, v[30:31], off offset:20 sc0 sc1
	s_waitcnt vmcnt(0)
	buffer_inv sc0 sc1
	v_and_b32_e32 v4, 1, v4
	s_branch .LBB3_101
.LBB3_106:                              ;   in Loop: Header=BB3_28 Depth=1
	global_load_dwordx2 v[2:3], v[2:3], off
	s_and_saveexec_b64 s[14:15], s[0:1]
	s_cbranch_execz .LBB3_27
; %bb.107:                              ;   in Loop: Header=BB3_28 Depth=1
	global_load_dwordx2 v[4:5], v29, s[2:3] offset:40
	global_load_dwordx2 v[12:13], v29, s[2:3] offset:24 sc0 sc1
	global_load_dwordx2 v[8:9], v29, s[2:3]
	s_waitcnt vmcnt(2)
	v_readfirstlane_b32 s16, v4
	v_readfirstlane_b32 s17, v5
	s_add_u32 s18, s16, 1
	s_addc_u32 s19, s17, 0
	s_add_u32 s0, s18, s12
	s_addc_u32 s1, s19, s13
	s_cmp_eq_u64 s[0:1], 0
	s_cselect_b32 s1, s19, s1
	s_cselect_b32 s0, s18, s0
	s_and_b64 s[12:13], s[0:1], s[16:17]
	s_mul_i32 s13, s13, 24
	s_mul_hi_u32 s16, s12, 24
	s_mul_i32 s12, s12, 24
	s_add_i32 s13, s16, s13
	s_waitcnt vmcnt(0)
	v_lshl_add_u64 v[4:5], v[8:9], 0, s[12:13]
	v_mov_b32_e32 v10, s0
	global_store_dwordx2 v[4:5], v[12:13], off
	v_mov_b32_e32 v11, s1
	buffer_wbl2 sc0 sc1
	s_waitcnt vmcnt(0)
	global_atomic_cmpswap_x2 v[10:11], v29, v[10:13], s[2:3] offset:24 sc0 sc1
	s_waitcnt vmcnt(0)
	v_cmp_ne_u64_e32 vcc, v[10:11], v[12:13]
	s_and_b64 exec, exec, vcc
	s_cbranch_execz .LBB3_27
; %bb.108:                              ;   in Loop: Header=BB3_28 Depth=1
	s_mov_b64 s[12:13], 0
.LBB3_109:                              ;   Parent Loop BB3_28 Depth=1
                                        ; =>  This Inner Loop Header: Depth=2
	s_sleep 1
	global_store_dwordx2 v[4:5], v[10:11], off
	v_mov_b32_e32 v8, s0
	v_mov_b32_e32 v9, s1
	buffer_wbl2 sc0 sc1
	s_waitcnt vmcnt(0)
	global_atomic_cmpswap_x2 v[8:9], v29, v[8:11], s[2:3] offset:24 sc0 sc1
	s_waitcnt vmcnt(0)
	v_cmp_eq_u64_e32 vcc, v[8:9], v[10:11]
	s_or_b64 s[12:13], vcc, s[12:13]
	v_mov_b64_e32 v[10:11], v[8:9]
	s_andn2_b64 exec, exec, s[12:13]
	s_cbranch_execnz .LBB3_109
	s_branch .LBB3_27
.LBB3_110:
                                        ; implicit-def: $vgpr2_vgpr3
	s_cbranch_execnz .LBB3_112
	s_branch .LBB3_138
.LBB3_111:
	s_branch .LBB3_138
.LBB3_112:
	v_readfirstlane_b32 s0, v1
	v_mov_b64_e32 v[8:9], 0
	s_nop 0
	v_cmp_eq_u32_e64 s[0:1], s0, v1
	s_and_saveexec_b64 s[4:5], s[0:1]
	s_cbranch_execz .LBB3_118
; %bb.113:
	s_waitcnt vmcnt(0)
	v_mov_b32_e32 v2, 0
	global_load_dwordx2 v[10:11], v2, s[2:3] offset:24 sc0 sc1
	s_waitcnt vmcnt(0)
	buffer_inv sc0 sc1
	global_load_dwordx2 v[4:5], v2, s[2:3] offset:40
	global_load_dwordx2 v[8:9], v2, s[2:3]
	s_waitcnt vmcnt(1)
	v_and_b32_e32 v3, v4, v10
	v_and_b32_e32 v4, v5, v11
	v_mul_lo_u32 v4, v4, 24
	v_mul_hi_u32 v5, v3, 24
	v_add_u32_e32 v5, v5, v4
	v_mul_lo_u32 v4, v3, 24
	s_waitcnt vmcnt(0)
	v_lshl_add_u64 v[4:5], v[8:9], 0, v[4:5]
	global_load_dwordx2 v[8:9], v[4:5], off sc0 sc1
	s_waitcnt vmcnt(0)
	global_atomic_cmpswap_x2 v[8:9], v2, v[8:11], s[2:3] offset:24 sc0 sc1
	s_waitcnt vmcnt(0)
	buffer_inv sc0 sc1
	v_cmp_ne_u64_e32 vcc, v[8:9], v[10:11]
	s_and_saveexec_b64 s[6:7], vcc
	s_cbranch_execz .LBB3_117
; %bb.114:
	s_mov_b64 s[10:11], 0
.LBB3_115:                              ; =>This Inner Loop Header: Depth=1
	s_sleep 1
	global_load_dwordx2 v[4:5], v2, s[2:3] offset:40
	global_load_dwordx2 v[12:13], v2, s[2:3]
	v_mov_b64_e32 v[10:11], v[8:9]
	s_waitcnt vmcnt(1)
	v_and_b32_e32 v4, v4, v10
	v_and_b32_e32 v3, v5, v11
	s_waitcnt vmcnt(0)
	v_mad_u64_u32 v[4:5], s[12:13], v4, 24, v[12:13]
	v_mov_b32_e32 v8, v5
	v_mad_u64_u32 v[8:9], s[12:13], v3, 24, v[8:9]
	v_mov_b32_e32 v5, v8
	global_load_dwordx2 v[8:9], v[4:5], off sc0 sc1
	s_waitcnt vmcnt(0)
	global_atomic_cmpswap_x2 v[8:9], v2, v[8:11], s[2:3] offset:24 sc0 sc1
	s_waitcnt vmcnt(0)
	buffer_inv sc0 sc1
	v_cmp_eq_u64_e32 vcc, v[8:9], v[10:11]
	s_or_b64 s[10:11], vcc, s[10:11]
	s_andn2_b64 exec, exec, s[10:11]
	s_cbranch_execnz .LBB3_115
; %bb.116:
	s_or_b64 exec, exec, s[10:11]
.LBB3_117:
	s_or_b64 exec, exec, s[6:7]
.LBB3_118:
	s_or_b64 exec, exec, s[4:5]
	v_mov_b32_e32 v25, 0
	global_load_dwordx2 v[10:11], v25, s[2:3] offset:40
	global_load_dwordx4 v[2:5], v25, s[2:3]
	v_readfirstlane_b32 s5, v9
	v_readfirstlane_b32 s4, v8
	s_mov_b64 s[6:7], exec
	s_waitcnt vmcnt(1)
	v_readfirstlane_b32 s10, v10
	v_readfirstlane_b32 s11, v11
	s_and_b64 s[10:11], s[10:11], s[4:5]
	s_mul_i32 s12, s11, 24
	s_mul_hi_u32 s13, s10, 24
	s_add_i32 s13, s13, s12
	s_mul_i32 s12, s10, 24
	s_waitcnt vmcnt(0)
	v_lshl_add_u64 v[10:11], v[2:3], 0, s[12:13]
	s_and_saveexec_b64 s[12:13], s[0:1]
	s_cbranch_execz .LBB3_120
; %bb.119:
	v_mov_b64_e32 v[12:13], s[6:7]
	v_mov_b32_e32 v14, 2
	v_mov_b32_e32 v15, 1
	global_store_dwordx4 v[10:11], v[12:15], off offset:8
.LBB3_120:
	s_or_b64 exec, exec, s[12:13]
	s_lshl_b64 s[6:7], s[10:11], 12
	v_lshl_add_u64 v[12:13], v[4:5], 0, s[6:7]
	s_movk_i32 s6, 0xff1f
	s_mov_b32 s12, 0
	v_and_or_b32 v6, v6, s6, 32
	v_mov_b32_e32 v8, v25
	v_mov_b32_e32 v9, v25
	v_readfirstlane_b32 s6, v12
	v_readfirstlane_b32 s7, v13
	s_mov_b32 s13, s12
	s_mov_b32 s14, s12
	;; [unrolled: 1-line block ×3, first 2 shown]
	s_nop 1
	global_store_dwordx4 v24, v[6:9], s[6:7]
	v_mov_b64_e32 v[4:5], s[12:13]
	s_nop 0
	v_mov_b64_e32 v[6:7], s[14:15]
	global_store_dwordx4 v24, v[4:7], s[6:7] offset:16
	global_store_dwordx4 v24, v[4:7], s[6:7] offset:32
	;; [unrolled: 1-line block ×3, first 2 shown]
	s_and_saveexec_b64 s[6:7], s[0:1]
	s_cbranch_execz .LBB3_128
; %bb.121:
	v_mov_b32_e32 v8, 0
	global_load_dwordx2 v[16:17], v8, s[2:3] offset:32 sc0 sc1
	global_load_dwordx2 v[4:5], v8, s[2:3] offset:40
	v_mov_b32_e32 v14, s4
	v_mov_b32_e32 v15, s5
	s_waitcnt vmcnt(0)
	v_readfirstlane_b32 s10, v4
	v_readfirstlane_b32 s11, v5
	s_and_b64 s[10:11], s[10:11], s[4:5]
	s_mul_i32 s11, s11, 24
	s_mul_hi_u32 s12, s10, 24
	s_mul_i32 s10, s10, 24
	s_add_i32 s11, s12, s11
	v_lshl_add_u64 v[6:7], v[2:3], 0, s[10:11]
	global_store_dwordx2 v[6:7], v[16:17], off
	buffer_wbl2 sc0 sc1
	s_waitcnt vmcnt(0)
	global_atomic_cmpswap_x2 v[4:5], v8, v[14:17], s[2:3] offset:32 sc0 sc1
	s_waitcnt vmcnt(0)
	v_cmp_ne_u64_e32 vcc, v[4:5], v[16:17]
	s_and_saveexec_b64 s[10:11], vcc
	s_cbranch_execz .LBB3_124
; %bb.122:
	s_mov_b64 s[12:13], 0
.LBB3_123:                              ; =>This Inner Loop Header: Depth=1
	s_sleep 1
	global_store_dwordx2 v[6:7], v[4:5], off
	v_mov_b32_e32 v2, s4
	v_mov_b32_e32 v3, s5
	buffer_wbl2 sc0 sc1
	s_waitcnt vmcnt(0)
	global_atomic_cmpswap_x2 v[2:3], v8, v[2:5], s[2:3] offset:32 sc0 sc1
	s_waitcnt vmcnt(0)
	v_cmp_eq_u64_e32 vcc, v[2:3], v[4:5]
	s_or_b64 s[12:13], vcc, s[12:13]
	v_mov_b64_e32 v[4:5], v[2:3]
	s_andn2_b64 exec, exec, s[12:13]
	s_cbranch_execnz .LBB3_123
.LBB3_124:
	s_or_b64 exec, exec, s[10:11]
	v_mov_b32_e32 v5, 0
	global_load_dwordx2 v[2:3], v5, s[2:3] offset:16
	s_mov_b64 s[10:11], exec
	v_mbcnt_lo_u32_b32 v4, s10, 0
	v_mbcnt_hi_u32_b32 v4, s11, v4
	v_cmp_eq_u32_e32 vcc, 0, v4
	s_and_saveexec_b64 s[12:13], vcc
	s_cbranch_execz .LBB3_126
; %bb.125:
	s_bcnt1_i32_b64 s10, s[10:11]
	v_mov_b32_e32 v4, s10
	buffer_wbl2 sc0 sc1
	s_waitcnt vmcnt(0)
	global_atomic_add_x2 v[2:3], v[4:5], off offset:8 sc1
.LBB3_126:
	s_or_b64 exec, exec, s[12:13]
	s_waitcnt vmcnt(0)
	global_load_dwordx2 v[4:5], v[2:3], off offset:16
	s_waitcnt vmcnt(0)
	v_cmp_eq_u64_e32 vcc, 0, v[4:5]
	s_cbranch_vccnz .LBB3_128
; %bb.127:
	global_load_dword v2, v[2:3], off offset:24
	v_mov_b32_e32 v3, 0
	s_waitcnt vmcnt(0)
	v_readfirstlane_b32 s10, v2
	s_and_b32 m0, s10, 0xffffff
	buffer_wbl2 sc0 sc1
	global_store_dwordx2 v[4:5], v[2:3], off sc0 sc1
	s_sendmsg sendmsg(MSG_INTERRUPT)
.LBB3_128:
	s_or_b64 exec, exec, s[6:7]
	v_lshl_add_u64 v[2:3], v[12:13], 0, v[24:25]
	s_branch .LBB3_132
.LBB3_129:                              ;   in Loop: Header=BB3_132 Depth=1
	s_or_b64 exec, exec, s[6:7]
	v_readfirstlane_b32 s6, v4
	s_cmp_eq_u32 s6, 0
	s_cbranch_scc1 .LBB3_131
; %bb.130:                              ;   in Loop: Header=BB3_132 Depth=1
	s_sleep 1
	s_cbranch_execnz .LBB3_132
	s_branch .LBB3_134
.LBB3_131:
	s_branch .LBB3_134
.LBB3_132:                              ; =>This Inner Loop Header: Depth=1
	v_mov_b32_e32 v4, 1
	s_and_saveexec_b64 s[6:7], s[0:1]
	s_cbranch_execz .LBB3_129
; %bb.133:                              ;   in Loop: Header=BB3_132 Depth=1
	global_load_dword v4, v[10:11], off offset:20 sc0 sc1
	s_waitcnt vmcnt(0)
	buffer_inv sc0 sc1
	v_and_b32_e32 v4, 1, v4
	s_branch .LBB3_129
.LBB3_134:
	global_load_dwordx2 v[2:3], v[2:3], off
	s_and_saveexec_b64 s[6:7], s[0:1]
	s_cbranch_execz .LBB3_137
; %bb.135:
	v_mov_b32_e32 v10, 0
	global_load_dwordx2 v[4:5], v10, s[2:3] offset:40
	global_load_dwordx2 v[14:15], v10, s[2:3] offset:24 sc0 sc1
	global_load_dwordx2 v[6:7], v10, s[2:3]
	s_waitcnt vmcnt(2)
	v_readfirstlane_b32 s10, v4
	v_readfirstlane_b32 s11, v5
	s_add_u32 s12, s10, 1
	s_addc_u32 s13, s11, 0
	s_add_u32 s0, s12, s4
	s_addc_u32 s1, s13, s5
	s_cmp_eq_u64 s[0:1], 0
	s_cselect_b32 s1, s13, s1
	s_cselect_b32 s0, s12, s0
	s_and_b64 s[4:5], s[0:1], s[10:11]
	s_mul_i32 s5, s5, 24
	s_mul_hi_u32 s10, s4, 24
	s_mul_i32 s4, s4, 24
	s_add_i32 s5, s10, s5
	s_waitcnt vmcnt(0)
	v_lshl_add_u64 v[8:9], v[6:7], 0, s[4:5]
	v_mov_b32_e32 v12, s0
	global_store_dwordx2 v[8:9], v[14:15], off
	v_mov_b32_e32 v13, s1
	buffer_wbl2 sc0 sc1
	s_waitcnt vmcnt(0)
	global_atomic_cmpswap_x2 v[6:7], v10, v[12:15], s[2:3] offset:24 sc0 sc1
	s_mov_b64 s[4:5], 0
	s_waitcnt vmcnt(0)
	v_cmp_ne_u64_e32 vcc, v[6:7], v[14:15]
	s_and_b64 exec, exec, vcc
	s_cbranch_execz .LBB3_137
.LBB3_136:                              ; =>This Inner Loop Header: Depth=1
	s_sleep 1
	global_store_dwordx2 v[8:9], v[6:7], off
	v_mov_b32_e32 v4, s0
	v_mov_b32_e32 v5, s1
	buffer_wbl2 sc0 sc1
	s_waitcnt vmcnt(0)
	global_atomic_cmpswap_x2 v[4:5], v10, v[4:7], s[2:3] offset:24 sc0 sc1
	s_waitcnt vmcnt(0)
	v_cmp_eq_u64_e32 vcc, v[4:5], v[6:7]
	s_or_b64 s[4:5], vcc, s[4:5]
	v_mov_b64_e32 v[6:7], v[4:5]
	s_andn2_b64 exec, exec, s[4:5]
	s_cbranch_execnz .LBB3_136
.LBB3_137:
	s_or_b64 exec, exec, s[6:7]
.LBB3_138:
	s_getpc_b64 s[4:5]
	s_add_u32 s4, s4, .str.3@rel32@lo+4
	s_addc_u32 s5, s5, .str.3@rel32@hi+12
	s_cmp_lg_u64 s[4:5], 0
	s_cselect_b64 s[0:1], -1, 0
	s_cmp_eq_u64 s[4:5], 0
	s_mov_b64 s[4:5], 0
	s_cbranch_scc1 .LBB3_142
; %bb.139:
	v_mov_b32_e32 v4, 0
	s_getpc_b64 s[4:5]
	s_add_u32 s4, s4, .str.3@rel32@lo+3
	s_addc_u32 s5, s5, .str.3@rel32@hi+11
.LBB3_140:                              ; =>This Inner Loop Header: Depth=1
	global_load_ubyte v5, v4, s[4:5] offset:1
	s_add_u32 s6, s4, 1
	s_addc_u32 s7, s5, 0
	s_mov_b64 s[4:5], s[6:7]
	s_waitcnt vmcnt(0)
	v_cmp_ne_u32_e32 vcc, 0, v5
	s_cbranch_vccnz .LBB3_140
; %bb.141:
	s_getpc_b64 s[4:5]
	s_add_u32 s4, s4, .str.3@rel32@lo+4
	s_addc_u32 s5, s5, .str.3@rel32@hi+12
	s_sub_u32 s4, s6, s4
	s_subb_u32 s5, s7, s5
	s_add_u32 s4, s4, 1
	s_addc_u32 s5, s5, 0
.LBB3_142:
	s_and_b64 vcc, exec, s[0:1]
	s_cbranch_vccz .LBB3_227
; %bb.143:
	s_waitcnt vmcnt(0)
	v_and_b32_e32 v26, 2, v2
	v_mov_b32_e32 v29, 0
	v_and_b32_e32 v4, -3, v2
	v_mov_b32_e32 v5, v3
	v_mov_b32_e32 v34, 2
	;; [unrolled: 1-line block ×3, first 2 shown]
	s_getpc_b64 s[6:7]
	s_add_u32 s6, s6, .str.3@rel32@lo+4
	s_addc_u32 s7, s7, .str.3@rel32@hi+12
	s_branch .LBB3_145
.LBB3_144:                              ;   in Loop: Header=BB3_145 Depth=1
	s_or_b64 exec, exec, s[14:15]
	s_sub_u32 s4, s4, s10
	s_subb_u32 s5, s5, s11
	s_add_u32 s6, s6, s10
	s_addc_u32 s7, s7, s11
	s_cmp_lg_u64 s[4:5], 0
	s_cbranch_scc0 .LBB3_228
.LBB3_145:                              ; =>This Loop Header: Depth=1
                                        ;     Child Loop BB3_148 Depth 2
                                        ;     Child Loop BB3_156 Depth 2
	;; [unrolled: 1-line block ×11, first 2 shown]
	v_cmp_lt_u64_e64 s[0:1], s[4:5], 56
	s_and_b64 s[0:1], s[0:1], exec
	s_cselect_b32 s11, s5, 0
	s_cselect_b32 s10, s4, 56
	v_cmp_gt_u64_e64 s[12:13], s[4:5], 7
	s_add_u32 s0, s6, 8
	s_addc_u32 s1, s7, 0
	s_and_b64 vcc, exec, s[12:13]
	s_cbranch_vccnz .LBB3_149
; %bb.146:                              ;   in Loop: Header=BB3_145 Depth=1
	s_cmp_eq_u64 s[4:5], 0
	s_cbranch_scc1 .LBB3_150
; %bb.147:                              ;   in Loop: Header=BB3_145 Depth=1
	s_lshl_b64 s[0:1], s[10:11], 3
	s_mov_b64 s[12:13], 0
	v_mov_b64_e32 v[6:7], 0
	s_mov_b64 s[14:15], s[6:7]
.LBB3_148:                              ;   Parent Loop BB3_145 Depth=1
                                        ; =>  This Inner Loop Header: Depth=2
	global_load_ubyte v8, v29, s[14:15]
	s_waitcnt vmcnt(0)
	v_and_b32_e32 v28, 0xffff, v8
	v_lshlrev_b64 v[8:9], s12, v[28:29]
	s_add_u32 s12, s12, 8
	s_addc_u32 s13, s13, 0
	s_add_u32 s14, s14, 1
	s_addc_u32 s15, s15, 0
	v_or_b32_e32 v6, v8, v6
	s_cmp_lg_u32 s0, s12
	v_or_b32_e32 v7, v9, v7
	s_cbranch_scc1 .LBB3_148
	s_branch .LBB3_151
.LBB3_149:                              ;   in Loop: Header=BB3_145 Depth=1
	s_mov_b32 s16, 0
	s_branch .LBB3_152
.LBB3_150:                              ;   in Loop: Header=BB3_145 Depth=1
	v_mov_b64_e32 v[6:7], 0
.LBB3_151:                              ;   in Loop: Header=BB3_145 Depth=1
	s_mov_b64 s[0:1], s[6:7]
	s_mov_b32 s16, 0
	s_cbranch_execnz .LBB3_153
.LBB3_152:                              ;   in Loop: Header=BB3_145 Depth=1
	global_load_dwordx2 v[6:7], v29, s[6:7]
	s_add_i32 s16, s10, -8
.LBB3_153:                              ;   in Loop: Header=BB3_145 Depth=1
	s_add_u32 s12, s0, 8
	s_addc_u32 s13, s1, 0
	s_cmp_gt_u32 s16, 7
	s_cbranch_scc1 .LBB3_157
; %bb.154:                              ;   in Loop: Header=BB3_145 Depth=1
	s_cmp_eq_u32 s16, 0
	s_cbranch_scc1 .LBB3_158
; %bb.155:                              ;   in Loop: Header=BB3_145 Depth=1
	s_mov_b64 s[12:13], 0
	v_mov_b64_e32 v[8:9], 0
	s_mov_b64 s[14:15], 0
.LBB3_156:                              ;   Parent Loop BB3_145 Depth=1
                                        ; =>  This Inner Loop Header: Depth=2
	s_add_u32 s18, s0, s14
	s_addc_u32 s19, s1, s15
	global_load_ubyte v10, v29, s[18:19]
	s_add_u32 s14, s14, 1
	s_addc_u32 s15, s15, 0
	s_waitcnt vmcnt(0)
	v_and_b32_e32 v28, 0xffff, v10
	v_lshlrev_b64 v[10:11], s12, v[28:29]
	s_add_u32 s12, s12, 8
	s_addc_u32 s13, s13, 0
	v_or_b32_e32 v8, v10, v8
	s_cmp_lg_u32 s16, s14
	v_or_b32_e32 v9, v11, v9
	s_cbranch_scc1 .LBB3_156
	s_branch .LBB3_159
.LBB3_157:                              ;   in Loop: Header=BB3_145 Depth=1
                                        ; implicit-def: $vgpr8_vgpr9
	s_mov_b32 s17, 0
	s_branch .LBB3_160
.LBB3_158:                              ;   in Loop: Header=BB3_145 Depth=1
	v_mov_b64_e32 v[8:9], 0
.LBB3_159:                              ;   in Loop: Header=BB3_145 Depth=1
	s_mov_b64 s[12:13], s[0:1]
	s_mov_b32 s17, 0
	s_cbranch_execnz .LBB3_161
.LBB3_160:                              ;   in Loop: Header=BB3_145 Depth=1
	global_load_dwordx2 v[8:9], v29, s[0:1]
	s_add_i32 s17, s16, -8
.LBB3_161:                              ;   in Loop: Header=BB3_145 Depth=1
	s_add_u32 s0, s12, 8
	s_addc_u32 s1, s13, 0
	s_cmp_gt_u32 s17, 7
	s_cbranch_scc1 .LBB3_165
; %bb.162:                              ;   in Loop: Header=BB3_145 Depth=1
	s_cmp_eq_u32 s17, 0
	s_cbranch_scc1 .LBB3_166
; %bb.163:                              ;   in Loop: Header=BB3_145 Depth=1
	s_mov_b64 s[0:1], 0
	v_mov_b64_e32 v[10:11], 0
	s_mov_b64 s[14:15], 0
.LBB3_164:                              ;   Parent Loop BB3_145 Depth=1
                                        ; =>  This Inner Loop Header: Depth=2
	s_add_u32 s18, s12, s14
	s_addc_u32 s19, s13, s15
	global_load_ubyte v12, v29, s[18:19]
	s_add_u32 s14, s14, 1
	s_addc_u32 s15, s15, 0
	s_waitcnt vmcnt(0)
	v_and_b32_e32 v28, 0xffff, v12
	v_lshlrev_b64 v[12:13], s0, v[28:29]
	s_add_u32 s0, s0, 8
	s_addc_u32 s1, s1, 0
	v_or_b32_e32 v10, v12, v10
	s_cmp_lg_u32 s17, s14
	v_or_b32_e32 v11, v13, v11
	s_cbranch_scc1 .LBB3_164
	s_branch .LBB3_167
.LBB3_165:                              ;   in Loop: Header=BB3_145 Depth=1
	s_mov_b32 s16, 0
	s_branch .LBB3_168
.LBB3_166:                              ;   in Loop: Header=BB3_145 Depth=1
	v_mov_b64_e32 v[10:11], 0
.LBB3_167:                              ;   in Loop: Header=BB3_145 Depth=1
	s_mov_b64 s[0:1], s[12:13]
	s_mov_b32 s16, 0
	s_cbranch_execnz .LBB3_169
.LBB3_168:                              ;   in Loop: Header=BB3_145 Depth=1
	global_load_dwordx2 v[10:11], v29, s[12:13]
	s_add_i32 s16, s17, -8
.LBB3_169:                              ;   in Loop: Header=BB3_145 Depth=1
	s_add_u32 s12, s0, 8
	s_addc_u32 s13, s1, 0
	s_cmp_gt_u32 s16, 7
	s_cbranch_scc1 .LBB3_173
; %bb.170:                              ;   in Loop: Header=BB3_145 Depth=1
	s_cmp_eq_u32 s16, 0
	s_cbranch_scc1 .LBB3_174
; %bb.171:                              ;   in Loop: Header=BB3_145 Depth=1
	s_mov_b64 s[12:13], 0
	v_mov_b64_e32 v[12:13], 0
	s_mov_b64 s[14:15], 0
.LBB3_172:                              ;   Parent Loop BB3_145 Depth=1
                                        ; =>  This Inner Loop Header: Depth=2
	s_add_u32 s18, s0, s14
	s_addc_u32 s19, s1, s15
	global_load_ubyte v14, v29, s[18:19]
	s_add_u32 s14, s14, 1
	s_addc_u32 s15, s15, 0
	s_waitcnt vmcnt(0)
	v_and_b32_e32 v28, 0xffff, v14
	v_lshlrev_b64 v[14:15], s12, v[28:29]
	s_add_u32 s12, s12, 8
	s_addc_u32 s13, s13, 0
	v_or_b32_e32 v12, v14, v12
	s_cmp_lg_u32 s16, s14
	v_or_b32_e32 v13, v15, v13
	s_cbranch_scc1 .LBB3_172
	s_branch .LBB3_175
.LBB3_173:                              ;   in Loop: Header=BB3_145 Depth=1
                                        ; implicit-def: $vgpr12_vgpr13
	s_mov_b32 s17, 0
	s_branch .LBB3_176
.LBB3_174:                              ;   in Loop: Header=BB3_145 Depth=1
	v_mov_b64_e32 v[12:13], 0
.LBB3_175:                              ;   in Loop: Header=BB3_145 Depth=1
	s_mov_b64 s[12:13], s[0:1]
	s_mov_b32 s17, 0
	s_cbranch_execnz .LBB3_177
.LBB3_176:                              ;   in Loop: Header=BB3_145 Depth=1
	global_load_dwordx2 v[12:13], v29, s[0:1]
	s_add_i32 s17, s16, -8
.LBB3_177:                              ;   in Loop: Header=BB3_145 Depth=1
	s_add_u32 s0, s12, 8
	s_addc_u32 s1, s13, 0
	s_cmp_gt_u32 s17, 7
	s_cbranch_scc1 .LBB3_181
; %bb.178:                              ;   in Loop: Header=BB3_145 Depth=1
	s_cmp_eq_u32 s17, 0
	s_cbranch_scc1 .LBB3_182
; %bb.179:                              ;   in Loop: Header=BB3_145 Depth=1
	s_mov_b64 s[0:1], 0
	v_mov_b64_e32 v[14:15], 0
	s_mov_b64 s[14:15], 0
.LBB3_180:                              ;   Parent Loop BB3_145 Depth=1
                                        ; =>  This Inner Loop Header: Depth=2
	s_add_u32 s18, s12, s14
	s_addc_u32 s19, s13, s15
	global_load_ubyte v16, v29, s[18:19]
	s_add_u32 s14, s14, 1
	s_addc_u32 s15, s15, 0
	s_waitcnt vmcnt(0)
	v_and_b32_e32 v28, 0xffff, v16
	v_lshlrev_b64 v[16:17], s0, v[28:29]
	s_add_u32 s0, s0, 8
	s_addc_u32 s1, s1, 0
	v_or_b32_e32 v14, v16, v14
	s_cmp_lg_u32 s17, s14
	v_or_b32_e32 v15, v17, v15
	s_cbranch_scc1 .LBB3_180
	s_branch .LBB3_183
.LBB3_181:                              ;   in Loop: Header=BB3_145 Depth=1
	s_mov_b32 s16, 0
	s_branch .LBB3_184
.LBB3_182:                              ;   in Loop: Header=BB3_145 Depth=1
	v_mov_b64_e32 v[14:15], 0
.LBB3_183:                              ;   in Loop: Header=BB3_145 Depth=1
	s_mov_b64 s[0:1], s[12:13]
	s_mov_b32 s16, 0
	s_cbranch_execnz .LBB3_185
.LBB3_184:                              ;   in Loop: Header=BB3_145 Depth=1
	global_load_dwordx2 v[14:15], v29, s[12:13]
	s_add_i32 s16, s17, -8
.LBB3_185:                              ;   in Loop: Header=BB3_145 Depth=1
	s_add_u32 s12, s0, 8
	s_addc_u32 s13, s1, 0
	s_cmp_gt_u32 s16, 7
	s_cbranch_scc1 .LBB3_189
; %bb.186:                              ;   in Loop: Header=BB3_145 Depth=1
	s_cmp_eq_u32 s16, 0
	s_cbranch_scc1 .LBB3_190
; %bb.187:                              ;   in Loop: Header=BB3_145 Depth=1
	s_mov_b64 s[12:13], 0
	v_mov_b64_e32 v[16:17], 0
	s_mov_b64 s[14:15], 0
.LBB3_188:                              ;   Parent Loop BB3_145 Depth=1
                                        ; =>  This Inner Loop Header: Depth=2
	s_add_u32 s18, s0, s14
	s_addc_u32 s19, s1, s15
	global_load_ubyte v18, v29, s[18:19]
	s_add_u32 s14, s14, 1
	s_addc_u32 s15, s15, 0
	s_waitcnt vmcnt(0)
	v_and_b32_e32 v28, 0xffff, v18
	v_lshlrev_b64 v[18:19], s12, v[28:29]
	s_add_u32 s12, s12, 8
	s_addc_u32 s13, s13, 0
	v_or_b32_e32 v16, v18, v16
	s_cmp_lg_u32 s16, s14
	v_or_b32_e32 v17, v19, v17
	s_cbranch_scc1 .LBB3_188
	s_branch .LBB3_191
.LBB3_189:                              ;   in Loop: Header=BB3_145 Depth=1
                                        ; implicit-def: $vgpr16_vgpr17
	s_mov_b32 s17, 0
	s_branch .LBB3_192
.LBB3_190:                              ;   in Loop: Header=BB3_145 Depth=1
	v_mov_b64_e32 v[16:17], 0
.LBB3_191:                              ;   in Loop: Header=BB3_145 Depth=1
	s_mov_b64 s[12:13], s[0:1]
	s_mov_b32 s17, 0
	s_cbranch_execnz .LBB3_193
.LBB3_192:                              ;   in Loop: Header=BB3_145 Depth=1
	global_load_dwordx2 v[16:17], v29, s[0:1]
	s_add_i32 s17, s16, -8
.LBB3_193:                              ;   in Loop: Header=BB3_145 Depth=1
	s_cmp_gt_u32 s17, 7
	s_cbranch_scc1 .LBB3_197
; %bb.194:                              ;   in Loop: Header=BB3_145 Depth=1
	s_cmp_eq_u32 s17, 0
	s_cbranch_scc1 .LBB3_198
; %bb.195:                              ;   in Loop: Header=BB3_145 Depth=1
	s_mov_b64 s[0:1], 0
	v_mov_b64_e32 v[18:19], 0
	s_mov_b64 s[14:15], s[12:13]
.LBB3_196:                              ;   Parent Loop BB3_145 Depth=1
                                        ; =>  This Inner Loop Header: Depth=2
	global_load_ubyte v20, v29, s[14:15]
	s_add_i32 s17, s17, -1
	s_waitcnt vmcnt(0)
	v_and_b32_e32 v28, 0xffff, v20
	v_lshlrev_b64 v[20:21], s0, v[28:29]
	s_add_u32 s0, s0, 8
	s_addc_u32 s1, s1, 0
	s_add_u32 s14, s14, 1
	s_addc_u32 s15, s15, 0
	v_or_b32_e32 v18, v20, v18
	s_cmp_lg_u32 s17, 0
	v_or_b32_e32 v19, v21, v19
	s_cbranch_scc1 .LBB3_196
	s_branch .LBB3_199
.LBB3_197:                              ;   in Loop: Header=BB3_145 Depth=1
	s_branch .LBB3_200
.LBB3_198:                              ;   in Loop: Header=BB3_145 Depth=1
	v_mov_b64_e32 v[18:19], 0
.LBB3_199:                              ;   in Loop: Header=BB3_145 Depth=1
	s_cbranch_execnz .LBB3_201
.LBB3_200:                              ;   in Loop: Header=BB3_145 Depth=1
	global_load_dwordx2 v[18:19], v29, s[12:13]
.LBB3_201:                              ;   in Loop: Header=BB3_145 Depth=1
	v_readfirstlane_b32 s0, v1
	v_mov_b64_e32 v[30:31], 0
	s_nop 0
	v_cmp_eq_u32_e64 s[0:1], s0, v1
	s_and_saveexec_b64 s[12:13], s[0:1]
	s_cbranch_execz .LBB3_207
; %bb.202:                              ;   in Loop: Header=BB3_145 Depth=1
	global_load_dwordx2 v[22:23], v29, s[2:3] offset:24 sc0 sc1
	s_waitcnt vmcnt(0)
	buffer_inv sc0 sc1
	global_load_dwordx2 v[20:21], v29, s[2:3] offset:40
	global_load_dwordx2 v[30:31], v29, s[2:3]
	s_waitcnt vmcnt(1)
	v_and_b32_e32 v20, v20, v22
	v_and_b32_e32 v21, v21, v23
	v_mul_lo_u32 v21, v21, 24
	v_mul_hi_u32 v25, v20, 24
	v_add_u32_e32 v21, v25, v21
	v_mul_lo_u32 v20, v20, 24
	s_waitcnt vmcnt(0)
	v_lshl_add_u64 v[20:21], v[30:31], 0, v[20:21]
	global_load_dwordx2 v[20:21], v[20:21], off sc0 sc1
	s_waitcnt vmcnt(0)
	global_atomic_cmpswap_x2 v[30:31], v29, v[20:23], s[2:3] offset:24 sc0 sc1
	s_waitcnt vmcnt(0)
	buffer_inv sc0 sc1
	v_cmp_ne_u64_e32 vcc, v[30:31], v[22:23]
	s_and_saveexec_b64 s[14:15], vcc
	s_cbranch_execz .LBB3_206
; %bb.203:                              ;   in Loop: Header=BB3_145 Depth=1
	s_mov_b64 s[16:17], 0
.LBB3_204:                              ;   Parent Loop BB3_145 Depth=1
                                        ; =>  This Inner Loop Header: Depth=2
	s_sleep 1
	global_load_dwordx2 v[20:21], v29, s[2:3] offset:40
	global_load_dwordx2 v[32:33], v29, s[2:3]
	v_mov_b64_e32 v[22:23], v[30:31]
	s_waitcnt vmcnt(1)
	v_and_b32_e32 v20, v20, v22
	v_and_b32_e32 v25, v21, v23
	s_waitcnt vmcnt(0)
	v_mad_u64_u32 v[20:21], s[18:19], v20, 24, v[32:33]
	v_mov_b32_e32 v28, v21
	v_mad_u64_u32 v[30:31], s[18:19], v25, 24, v[28:29]
	v_mov_b32_e32 v21, v30
	global_load_dwordx2 v[20:21], v[20:21], off sc0 sc1
	s_waitcnt vmcnt(0)
	global_atomic_cmpswap_x2 v[30:31], v29, v[20:23], s[2:3] offset:24 sc0 sc1
	s_waitcnt vmcnt(0)
	buffer_inv sc0 sc1
	v_cmp_eq_u64_e32 vcc, v[30:31], v[22:23]
	s_or_b64 s[16:17], vcc, s[16:17]
	s_andn2_b64 exec, exec, s[16:17]
	s_cbranch_execnz .LBB3_204
; %bb.205:                              ;   in Loop: Header=BB3_145 Depth=1
	s_or_b64 exec, exec, s[16:17]
.LBB3_206:                              ;   in Loop: Header=BB3_145 Depth=1
	s_or_b64 exec, exec, s[14:15]
.LBB3_207:                              ;   in Loop: Header=BB3_145 Depth=1
	s_or_b64 exec, exec, s[12:13]
	global_load_dwordx2 v[32:33], v29, s[2:3] offset:40
	global_load_dwordx4 v[20:23], v29, s[2:3]
	v_readfirstlane_b32 s13, v31
	v_readfirstlane_b32 s12, v30
	s_mov_b64 s[14:15], exec
	s_waitcnt vmcnt(1)
	v_readfirstlane_b32 s16, v32
	v_readfirstlane_b32 s17, v33
	s_and_b64 s[16:17], s[16:17], s[12:13]
	s_mul_i32 s18, s17, 24
	s_mul_hi_u32 s19, s16, 24
	s_add_i32 s19, s19, s18
	s_mul_i32 s18, s16, 24
	s_waitcnt vmcnt(0)
	v_lshl_add_u64 v[30:31], v[20:21], 0, s[18:19]
	s_and_saveexec_b64 s[18:19], s[0:1]
	s_cbranch_execz .LBB3_209
; %bb.208:                              ;   in Loop: Header=BB3_145 Depth=1
	v_mov_b64_e32 v[32:33], s[14:15]
	global_store_dwordx4 v[30:31], v[32:35], off offset:8
.LBB3_209:                              ;   in Loop: Header=BB3_145 Depth=1
	s_or_b64 exec, exec, s[18:19]
	s_lshl_b64 s[14:15], s[16:17], 12
	v_lshl_add_u64 v[22:23], v[22:23], 0, s[14:15]
	v_cmp_lt_u64_e64 vcc, s[4:5], 57
	s_lshl_b32 s14, s10, 2
	s_add_i32 s14, s14, 28
	v_cndmask_b32_e32 v25, 0, v26, vcc
	v_and_b32_e32 v4, 0xffffff1f, v4
	s_and_b32 s14, s14, 0x1e0
	v_or_b32_e32 v4, v4, v25
	v_or_b32_e32 v4, s14, v4
	v_readfirstlane_b32 s14, v22
	v_readfirstlane_b32 s15, v23
	s_nop 4
	global_store_dwordx4 v24, v[4:7], s[14:15]
	global_store_dwordx4 v24, v[8:11], s[14:15] offset:16
	global_store_dwordx4 v24, v[12:15], s[14:15] offset:32
	;; [unrolled: 1-line block ×3, first 2 shown]
	s_and_saveexec_b64 s[14:15], s[0:1]
	s_cbranch_execz .LBB3_217
; %bb.210:                              ;   in Loop: Header=BB3_145 Depth=1
	global_load_dwordx2 v[12:13], v29, s[2:3] offset:32 sc0 sc1
	global_load_dwordx2 v[4:5], v29, s[2:3] offset:40
	v_mov_b32_e32 v10, s12
	v_mov_b32_e32 v11, s13
	s_waitcnt vmcnt(0)
	v_readfirstlane_b32 s16, v4
	v_readfirstlane_b32 s17, v5
	s_and_b64 s[16:17], s[16:17], s[12:13]
	s_mul_i32 s17, s17, 24
	s_mul_hi_u32 s18, s16, 24
	s_mul_i32 s16, s16, 24
	s_add_i32 s17, s18, s17
	v_lshl_add_u64 v[8:9], v[20:21], 0, s[16:17]
	global_store_dwordx2 v[8:9], v[12:13], off
	buffer_wbl2 sc0 sc1
	s_waitcnt vmcnt(0)
	global_atomic_cmpswap_x2 v[6:7], v29, v[10:13], s[2:3] offset:32 sc0 sc1
	s_waitcnt vmcnt(0)
	v_cmp_ne_u64_e32 vcc, v[6:7], v[12:13]
	s_and_saveexec_b64 s[16:17], vcc
	s_cbranch_execz .LBB3_213
; %bb.211:                              ;   in Loop: Header=BB3_145 Depth=1
	s_mov_b64 s[18:19], 0
.LBB3_212:                              ;   Parent Loop BB3_145 Depth=1
                                        ; =>  This Inner Loop Header: Depth=2
	s_sleep 1
	global_store_dwordx2 v[8:9], v[6:7], off
	v_mov_b32_e32 v4, s12
	v_mov_b32_e32 v5, s13
	buffer_wbl2 sc0 sc1
	s_waitcnt vmcnt(0)
	global_atomic_cmpswap_x2 v[4:5], v29, v[4:7], s[2:3] offset:32 sc0 sc1
	s_waitcnt vmcnt(0)
	v_cmp_eq_u64_e32 vcc, v[4:5], v[6:7]
	s_or_b64 s[18:19], vcc, s[18:19]
	v_mov_b64_e32 v[6:7], v[4:5]
	s_andn2_b64 exec, exec, s[18:19]
	s_cbranch_execnz .LBB3_212
.LBB3_213:                              ;   in Loop: Header=BB3_145 Depth=1
	s_or_b64 exec, exec, s[16:17]
	global_load_dwordx2 v[4:5], v29, s[2:3] offset:16
	s_mov_b64 s[18:19], exec
	v_mbcnt_lo_u32_b32 v6, s18, 0
	v_mbcnt_hi_u32_b32 v6, s19, v6
	v_cmp_eq_u32_e32 vcc, 0, v6
	s_and_saveexec_b64 s[16:17], vcc
	s_cbranch_execz .LBB3_215
; %bb.214:                              ;   in Loop: Header=BB3_145 Depth=1
	s_bcnt1_i32_b64 s18, s[18:19]
	v_mov_b32_e32 v28, s18
	buffer_wbl2 sc0 sc1
	s_waitcnt vmcnt(0)
	global_atomic_add_x2 v[4:5], v[28:29], off offset:8 sc1
.LBB3_215:                              ;   in Loop: Header=BB3_145 Depth=1
	s_or_b64 exec, exec, s[16:17]
	s_waitcnt vmcnt(0)
	global_load_dwordx2 v[6:7], v[4:5], off offset:16
	s_waitcnt vmcnt(0)
	v_cmp_eq_u64_e32 vcc, 0, v[6:7]
	s_cbranch_vccnz .LBB3_217
; %bb.216:                              ;   in Loop: Header=BB3_145 Depth=1
	global_load_dword v28, v[4:5], off offset:24
	s_waitcnt vmcnt(0)
	v_readfirstlane_b32 s16, v28
	s_and_b32 m0, s16, 0xffffff
	buffer_wbl2 sc0 sc1
	global_store_dwordx2 v[6:7], v[28:29], off sc0 sc1
	s_sendmsg sendmsg(MSG_INTERRUPT)
.LBB3_217:                              ;   in Loop: Header=BB3_145 Depth=1
	s_or_b64 exec, exec, s[14:15]
	v_mov_b32_e32 v25, v29
	v_lshl_add_u64 v[4:5], v[22:23], 0, v[24:25]
	s_branch .LBB3_221
.LBB3_218:                              ;   in Loop: Header=BB3_221 Depth=2
	s_or_b64 exec, exec, s[14:15]
	v_readfirstlane_b32 s14, v6
	s_cmp_eq_u32 s14, 0
	s_cbranch_scc1 .LBB3_220
; %bb.219:                              ;   in Loop: Header=BB3_221 Depth=2
	s_sleep 1
	s_cbranch_execnz .LBB3_221
	s_branch .LBB3_223
.LBB3_220:                              ;   in Loop: Header=BB3_145 Depth=1
	s_branch .LBB3_223
.LBB3_221:                              ;   Parent Loop BB3_145 Depth=1
                                        ; =>  This Inner Loop Header: Depth=2
	v_mov_b32_e32 v6, 1
	s_and_saveexec_b64 s[14:15], s[0:1]
	s_cbranch_execz .LBB3_218
; %bb.222:                              ;   in Loop: Header=BB3_221 Depth=2
	global_load_dword v6, v[30:31], off offset:20 sc0 sc1
	s_waitcnt vmcnt(0)
	buffer_inv sc0 sc1
	v_and_b32_e32 v6, 1, v6
	s_branch .LBB3_218
.LBB3_223:                              ;   in Loop: Header=BB3_145 Depth=1
	global_load_dwordx2 v[4:5], v[4:5], off
	s_and_saveexec_b64 s[14:15], s[0:1]
	s_cbranch_execz .LBB3_144
; %bb.224:                              ;   in Loop: Header=BB3_145 Depth=1
	global_load_dwordx2 v[6:7], v29, s[2:3] offset:40
	global_load_dwordx2 v[14:15], v29, s[2:3] offset:24 sc0 sc1
	global_load_dwordx2 v[8:9], v29, s[2:3]
	s_waitcnt vmcnt(2)
	v_readfirstlane_b32 s16, v6
	v_readfirstlane_b32 s17, v7
	s_add_u32 s18, s16, 1
	s_addc_u32 s19, s17, 0
	s_add_u32 s0, s18, s12
	s_addc_u32 s1, s19, s13
	s_cmp_eq_u64 s[0:1], 0
	s_cselect_b32 s1, s19, s1
	s_cselect_b32 s0, s18, s0
	s_and_b64 s[12:13], s[0:1], s[16:17]
	s_mul_i32 s13, s13, 24
	s_mul_hi_u32 s16, s12, 24
	s_mul_i32 s12, s12, 24
	s_add_i32 s13, s16, s13
	s_waitcnt vmcnt(0)
	v_lshl_add_u64 v[10:11], v[8:9], 0, s[12:13]
	v_mov_b32_e32 v12, s0
	global_store_dwordx2 v[10:11], v[14:15], off
	v_mov_b32_e32 v13, s1
	buffer_wbl2 sc0 sc1
	s_waitcnt vmcnt(0)
	global_atomic_cmpswap_x2 v[8:9], v29, v[12:15], s[2:3] offset:24 sc0 sc1
	s_waitcnt vmcnt(0)
	v_cmp_ne_u64_e32 vcc, v[8:9], v[14:15]
	s_and_b64 exec, exec, vcc
	s_cbranch_execz .LBB3_144
; %bb.225:                              ;   in Loop: Header=BB3_145 Depth=1
	s_mov_b64 s[12:13], 0
.LBB3_226:                              ;   Parent Loop BB3_145 Depth=1
                                        ; =>  This Inner Loop Header: Depth=2
	s_sleep 1
	global_store_dwordx2 v[10:11], v[8:9], off
	v_mov_b32_e32 v6, s0
	v_mov_b32_e32 v7, s1
	buffer_wbl2 sc0 sc1
	s_waitcnt vmcnt(0)
	global_atomic_cmpswap_x2 v[6:7], v29, v[6:9], s[2:3] offset:24 sc0 sc1
	s_waitcnt vmcnt(0)
	v_cmp_eq_u64_e32 vcc, v[6:7], v[8:9]
	s_or_b64 s[12:13], vcc, s[12:13]
	v_mov_b64_e32 v[8:9], v[6:7]
	s_andn2_b64 exec, exec, s[12:13]
	s_cbranch_execnz .LBB3_226
	s_branch .LBB3_144
.LBB3_227:
                                        ; implicit-def: $vgpr4_vgpr5
	s_cbranch_execnz .LBB3_229
	s_branch .LBB3_255
.LBB3_228:
	s_branch .LBB3_255
.LBB3_229:
	v_readfirstlane_b32 s0, v1
	s_waitcnt vmcnt(0)
	v_mov_b64_e32 v[4:5], 0
	v_cmp_eq_u32_e64 s[0:1], s0, v1
	s_and_saveexec_b64 s[4:5], s[0:1]
	s_cbranch_execz .LBB3_235
; %bb.230:
	v_mov_b32_e32 v6, 0
	global_load_dwordx2 v[10:11], v6, s[2:3] offset:24 sc0 sc1
	s_waitcnt vmcnt(0)
	buffer_inv sc0 sc1
	global_load_dwordx2 v[4:5], v6, s[2:3] offset:40
	global_load_dwordx2 v[8:9], v6, s[2:3]
	s_waitcnt vmcnt(1)
	v_and_b32_e32 v4, v4, v10
	v_and_b32_e32 v5, v5, v11
	v_mul_lo_u32 v5, v5, 24
	v_mul_hi_u32 v7, v4, 24
	v_add_u32_e32 v5, v7, v5
	v_mul_lo_u32 v4, v4, 24
	s_waitcnt vmcnt(0)
	v_lshl_add_u64 v[4:5], v[8:9], 0, v[4:5]
	global_load_dwordx2 v[8:9], v[4:5], off sc0 sc1
	s_waitcnt vmcnt(0)
	global_atomic_cmpswap_x2 v[4:5], v6, v[8:11], s[2:3] offset:24 sc0 sc1
	s_waitcnt vmcnt(0)
	buffer_inv sc0 sc1
	v_cmp_ne_u64_e32 vcc, v[4:5], v[10:11]
	s_and_saveexec_b64 s[6:7], vcc
	s_cbranch_execz .LBB3_234
; %bb.231:
	s_mov_b64 s[10:11], 0
.LBB3_232:                              ; =>This Inner Loop Header: Depth=1
	s_sleep 1
	global_load_dwordx2 v[8:9], v6, s[2:3] offset:40
	global_load_dwordx2 v[12:13], v6, s[2:3]
	v_mov_b64_e32 v[10:11], v[4:5]
	s_waitcnt vmcnt(1)
	v_and_b32_e32 v4, v8, v10
	s_waitcnt vmcnt(0)
	v_mad_u64_u32 v[4:5], s[12:13], v4, 24, v[12:13]
	v_and_b32_e32 v7, v9, v11
	v_mov_b32_e32 v8, v5
	v_mad_u64_u32 v[8:9], s[12:13], v7, 24, v[8:9]
	v_mov_b32_e32 v5, v8
	global_load_dwordx2 v[8:9], v[4:5], off sc0 sc1
	s_waitcnt vmcnt(0)
	global_atomic_cmpswap_x2 v[4:5], v6, v[8:11], s[2:3] offset:24 sc0 sc1
	s_waitcnt vmcnt(0)
	buffer_inv sc0 sc1
	v_cmp_eq_u64_e32 vcc, v[4:5], v[10:11]
	s_or_b64 s[10:11], vcc, s[10:11]
	s_andn2_b64 exec, exec, s[10:11]
	s_cbranch_execnz .LBB3_232
; %bb.233:
	s_or_b64 exec, exec, s[10:11]
.LBB3_234:
	s_or_b64 exec, exec, s[6:7]
.LBB3_235:
	s_or_b64 exec, exec, s[4:5]
	v_mov_b32_e32 v25, 0
	global_load_dwordx2 v[10:11], v25, s[2:3] offset:40
	global_load_dwordx4 v[6:9], v25, s[2:3]
	v_readfirstlane_b32 s5, v5
	v_readfirstlane_b32 s4, v4
	s_mov_b64 s[6:7], exec
	s_waitcnt vmcnt(1)
	v_readfirstlane_b32 s10, v10
	v_readfirstlane_b32 s11, v11
	s_and_b64 s[10:11], s[10:11], s[4:5]
	s_mul_i32 s12, s11, 24
	s_mul_hi_u32 s13, s10, 24
	s_add_i32 s13, s13, s12
	s_mul_i32 s12, s10, 24
	s_waitcnt vmcnt(0)
	v_lshl_add_u64 v[10:11], v[6:7], 0, s[12:13]
	s_and_saveexec_b64 s[12:13], s[0:1]
	s_cbranch_execz .LBB3_237
; %bb.236:
	v_mov_b64_e32 v[12:13], s[6:7]
	v_mov_b32_e32 v14, 2
	v_mov_b32_e32 v15, 1
	global_store_dwordx4 v[10:11], v[12:15], off offset:8
.LBB3_237:
	s_or_b64 exec, exec, s[12:13]
	s_lshl_b64 s[6:7], s[10:11], 12
	v_lshl_add_u64 v[8:9], v[8:9], 0, s[6:7]
	s_movk_i32 s6, 0xff1f
	s_mov_b32 s12, 0
	v_and_or_b32 v2, v2, s6, 32
	v_mov_b32_e32 v4, v25
	v_mov_b32_e32 v5, v25
	v_readfirstlane_b32 s6, v8
	v_readfirstlane_b32 s7, v9
	s_mov_b32 s13, s12
	s_mov_b32 s14, s12
	s_mov_b32 s15, s12
	s_nop 1
	global_store_dwordx4 v24, v[2:5], s[6:7]
	s_nop 1
	v_mov_b64_e32 v[2:3], s[12:13]
	v_mov_b64_e32 v[4:5], s[14:15]
	global_store_dwordx4 v24, v[2:5], s[6:7] offset:16
	global_store_dwordx4 v24, v[2:5], s[6:7] offset:32
	;; [unrolled: 1-line block ×3, first 2 shown]
	s_and_saveexec_b64 s[6:7], s[0:1]
	s_cbranch_execz .LBB3_245
; %bb.238:
	v_mov_b32_e32 v12, 0
	global_load_dwordx2 v[16:17], v12, s[2:3] offset:32 sc0 sc1
	global_load_dwordx2 v[2:3], v12, s[2:3] offset:40
	v_mov_b32_e32 v14, s4
	v_mov_b32_e32 v15, s5
	s_waitcnt vmcnt(0)
	v_readfirstlane_b32 s10, v2
	v_readfirstlane_b32 s11, v3
	s_and_b64 s[10:11], s[10:11], s[4:5]
	s_mul_i32 s11, s11, 24
	s_mul_hi_u32 s12, s10, 24
	s_mul_i32 s10, s10, 24
	s_add_i32 s11, s12, s11
	v_lshl_add_u64 v[6:7], v[6:7], 0, s[10:11]
	global_store_dwordx2 v[6:7], v[16:17], off
	buffer_wbl2 sc0 sc1
	s_waitcnt vmcnt(0)
	global_atomic_cmpswap_x2 v[4:5], v12, v[14:17], s[2:3] offset:32 sc0 sc1
	s_waitcnt vmcnt(0)
	v_cmp_ne_u64_e32 vcc, v[4:5], v[16:17]
	s_and_saveexec_b64 s[10:11], vcc
	s_cbranch_execz .LBB3_241
; %bb.239:
	s_mov_b64 s[12:13], 0
.LBB3_240:                              ; =>This Inner Loop Header: Depth=1
	s_sleep 1
	global_store_dwordx2 v[6:7], v[4:5], off
	v_mov_b32_e32 v2, s4
	v_mov_b32_e32 v3, s5
	buffer_wbl2 sc0 sc1
	s_waitcnt vmcnt(0)
	global_atomic_cmpswap_x2 v[2:3], v12, v[2:5], s[2:3] offset:32 sc0 sc1
	s_waitcnt vmcnt(0)
	v_cmp_eq_u64_e32 vcc, v[2:3], v[4:5]
	s_or_b64 s[12:13], vcc, s[12:13]
	v_mov_b64_e32 v[4:5], v[2:3]
	s_andn2_b64 exec, exec, s[12:13]
	s_cbranch_execnz .LBB3_240
.LBB3_241:
	s_or_b64 exec, exec, s[10:11]
	v_mov_b32_e32 v5, 0
	global_load_dwordx2 v[2:3], v5, s[2:3] offset:16
	s_mov_b64 s[10:11], exec
	v_mbcnt_lo_u32_b32 v4, s10, 0
	v_mbcnt_hi_u32_b32 v4, s11, v4
	v_cmp_eq_u32_e32 vcc, 0, v4
	s_and_saveexec_b64 s[12:13], vcc
	s_cbranch_execz .LBB3_243
; %bb.242:
	s_bcnt1_i32_b64 s10, s[10:11]
	v_mov_b32_e32 v4, s10
	buffer_wbl2 sc0 sc1
	s_waitcnt vmcnt(0)
	global_atomic_add_x2 v[2:3], v[4:5], off offset:8 sc1
.LBB3_243:
	s_or_b64 exec, exec, s[12:13]
	s_waitcnt vmcnt(0)
	global_load_dwordx2 v[4:5], v[2:3], off offset:16
	s_waitcnt vmcnt(0)
	v_cmp_eq_u64_e32 vcc, 0, v[4:5]
	s_cbranch_vccnz .LBB3_245
; %bb.244:
	global_load_dword v2, v[2:3], off offset:24
	v_mov_b32_e32 v3, 0
	s_waitcnt vmcnt(0)
	v_readfirstlane_b32 s10, v2
	s_and_b32 m0, s10, 0xffffff
	buffer_wbl2 sc0 sc1
	global_store_dwordx2 v[4:5], v[2:3], off sc0 sc1
	s_sendmsg sendmsg(MSG_INTERRUPT)
.LBB3_245:
	s_or_b64 exec, exec, s[6:7]
	v_lshl_add_u64 v[2:3], v[8:9], 0, v[24:25]
	s_branch .LBB3_249
.LBB3_246:                              ;   in Loop: Header=BB3_249 Depth=1
	s_or_b64 exec, exec, s[6:7]
	v_readfirstlane_b32 s6, v4
	s_cmp_eq_u32 s6, 0
	s_cbranch_scc1 .LBB3_248
; %bb.247:                              ;   in Loop: Header=BB3_249 Depth=1
	s_sleep 1
	s_cbranch_execnz .LBB3_249
	s_branch .LBB3_251
.LBB3_248:
	s_branch .LBB3_251
.LBB3_249:                              ; =>This Inner Loop Header: Depth=1
	v_mov_b32_e32 v4, 1
	s_and_saveexec_b64 s[6:7], s[0:1]
	s_cbranch_execz .LBB3_246
; %bb.250:                              ;   in Loop: Header=BB3_249 Depth=1
	global_load_dword v4, v[10:11], off offset:20 sc0 sc1
	s_waitcnt vmcnt(0)
	buffer_inv sc0 sc1
	v_and_b32_e32 v4, 1, v4
	s_branch .LBB3_246
.LBB3_251:
	global_load_dwordx2 v[4:5], v[2:3], off
	s_and_saveexec_b64 s[6:7], s[0:1]
	s_cbranch_execz .LBB3_254
; %bb.252:
	v_mov_b32_e32 v10, 0
	global_load_dwordx2 v[2:3], v10, s[2:3] offset:40
	global_load_dwordx2 v[14:15], v10, s[2:3] offset:24 sc0 sc1
	global_load_dwordx2 v[6:7], v10, s[2:3]
	s_waitcnt vmcnt(2)
	v_readfirstlane_b32 s10, v2
	v_readfirstlane_b32 s11, v3
	s_add_u32 s12, s10, 1
	s_addc_u32 s13, s11, 0
	s_add_u32 s0, s12, s4
	s_addc_u32 s1, s13, s5
	s_cmp_eq_u64 s[0:1], 0
	s_cselect_b32 s1, s13, s1
	s_cselect_b32 s0, s12, s0
	s_and_b64 s[4:5], s[0:1], s[10:11]
	s_mul_i32 s5, s5, 24
	s_mul_hi_u32 s10, s4, 24
	s_mul_i32 s4, s4, 24
	s_add_i32 s5, s10, s5
	s_waitcnt vmcnt(0)
	v_lshl_add_u64 v[2:3], v[6:7], 0, s[4:5]
	v_mov_b32_e32 v12, s0
	global_store_dwordx2 v[2:3], v[14:15], off
	v_mov_b32_e32 v13, s1
	buffer_wbl2 sc0 sc1
	s_waitcnt vmcnt(0)
	global_atomic_cmpswap_x2 v[8:9], v10, v[12:15], s[2:3] offset:24 sc0 sc1
	s_mov_b64 s[4:5], 0
	s_waitcnt vmcnt(0)
	v_cmp_ne_u64_e32 vcc, v[8:9], v[14:15]
	s_and_b64 exec, exec, vcc
	s_cbranch_execz .LBB3_254
.LBB3_253:                              ; =>This Inner Loop Header: Depth=1
	s_sleep 1
	global_store_dwordx2 v[2:3], v[8:9], off
	v_mov_b32_e32 v6, s0
	v_mov_b32_e32 v7, s1
	buffer_wbl2 sc0 sc1
	s_waitcnt vmcnt(0)
	global_atomic_cmpswap_x2 v[6:7], v10, v[6:9], s[2:3] offset:24 sc0 sc1
	s_waitcnt vmcnt(0)
	v_cmp_eq_u64_e32 vcc, v[6:7], v[8:9]
	s_or_b64 s[4:5], vcc, s[4:5]
	v_mov_b64_e32 v[8:9], v[6:7]
	s_andn2_b64 exec, exec, s[4:5]
	s_cbranch_execnz .LBB3_253
.LBB3_254:
	s_or_b64 exec, exec, s[6:7]
.LBB3_255:
	v_readfirstlane_b32 s0, v1
	s_waitcnt vmcnt(0)
	v_mov_b64_e32 v[2:3], 0
	v_cmp_eq_u32_e64 s[0:1], s0, v1
	s_and_saveexec_b64 s[4:5], s[0:1]
	s_cbranch_execz .LBB3_261
; %bb.256:
	v_mov_b32_e32 v1, 0
	global_load_dwordx2 v[8:9], v1, s[2:3] offset:24 sc0 sc1
	s_waitcnt vmcnt(0)
	buffer_inv sc0 sc1
	global_load_dwordx2 v[2:3], v1, s[2:3] offset:40
	global_load_dwordx2 v[6:7], v1, s[2:3]
	s_waitcnt vmcnt(1)
	v_and_b32_e32 v2, v2, v8
	v_and_b32_e32 v3, v3, v9
	v_mul_lo_u32 v3, v3, 24
	v_mul_hi_u32 v10, v2, 24
	v_add_u32_e32 v3, v10, v3
	v_mul_lo_u32 v2, v2, 24
	s_waitcnt vmcnt(0)
	v_lshl_add_u64 v[2:3], v[6:7], 0, v[2:3]
	global_load_dwordx2 v[6:7], v[2:3], off sc0 sc1
	s_waitcnt vmcnt(0)
	global_atomic_cmpswap_x2 v[2:3], v1, v[6:9], s[2:3] offset:24 sc0 sc1
	s_waitcnt vmcnt(0)
	buffer_inv sc0 sc1
	v_cmp_ne_u64_e32 vcc, v[2:3], v[8:9]
	s_and_saveexec_b64 s[6:7], vcc
	s_cbranch_execz .LBB3_260
; %bb.257:
	s_mov_b64 s[10:11], 0
.LBB3_258:                              ; =>This Inner Loop Header: Depth=1
	s_sleep 1
	global_load_dwordx2 v[6:7], v1, s[2:3] offset:40
	global_load_dwordx2 v[10:11], v1, s[2:3]
	v_mov_b64_e32 v[8:9], v[2:3]
	s_waitcnt vmcnt(1)
	v_and_b32_e32 v2, v6, v8
	s_waitcnt vmcnt(0)
	v_mad_u64_u32 v[2:3], s[12:13], v2, 24, v[10:11]
	v_and_b32_e32 v7, v7, v9
	v_mov_b32_e32 v6, v3
	v_mad_u64_u32 v[6:7], s[12:13], v7, 24, v[6:7]
	v_mov_b32_e32 v3, v6
	global_load_dwordx2 v[6:7], v[2:3], off sc0 sc1
	s_waitcnt vmcnt(0)
	global_atomic_cmpswap_x2 v[2:3], v1, v[6:9], s[2:3] offset:24 sc0 sc1
	s_waitcnt vmcnt(0)
	buffer_inv sc0 sc1
	v_cmp_eq_u64_e32 vcc, v[2:3], v[8:9]
	s_or_b64 s[10:11], vcc, s[10:11]
	s_andn2_b64 exec, exec, s[10:11]
	s_cbranch_execnz .LBB3_258
; %bb.259:
	s_or_b64 exec, exec, s[10:11]
.LBB3_260:
	s_or_b64 exec, exec, s[6:7]
.LBB3_261:
	s_or_b64 exec, exec, s[4:5]
	v_mov_b32_e32 v25, 0
	global_load_dwordx2 v[6:7], v25, s[2:3] offset:40
	global_load_dwordx4 v[8:11], v25, s[2:3]
	v_readfirstlane_b32 s5, v3
	v_readfirstlane_b32 s4, v2
	s_mov_b64 s[6:7], exec
	s_waitcnt vmcnt(1)
	v_readfirstlane_b32 s10, v6
	v_readfirstlane_b32 s11, v7
	s_and_b64 s[10:11], s[10:11], s[4:5]
	s_mul_i32 s12, s11, 24
	s_mul_hi_u32 s13, s10, 24
	s_add_i32 s13, s13, s12
	s_mul_i32 s12, s10, 24
	s_waitcnt vmcnt(0)
	v_lshl_add_u64 v[12:13], v[8:9], 0, s[12:13]
	s_and_saveexec_b64 s[12:13], s[0:1]
	s_cbranch_execz .LBB3_263
; %bb.262:
	v_mov_b64_e32 v[14:15], s[6:7]
	v_mov_b32_e32 v16, 2
	v_mov_b32_e32 v17, 1
	global_store_dwordx4 v[12:13], v[14:17], off offset:8
.LBB3_263:
	s_or_b64 exec, exec, s[12:13]
	s_mov_b32 s12, 0
	s_lshl_b64 s[6:7], s[10:11], 12
	s_mov_b32 s13, s12
	v_lshl_add_u64 v[10:11], v[10:11], 0, s[6:7]
	s_movk_i32 s6, 0xff1f
	v_mov_b32_e32 v6, v0
	s_mov_b32 s14, s12
	s_mov_b32 s15, s12
	v_mov_b64_e32 v[0:1], s[12:13]
	v_and_or_b32 v4, v4, s6, 32
	v_mov_b32_e32 v7, v25
	v_readfirstlane_b32 s6, v10
	v_readfirstlane_b32 s7, v11
	v_mov_b64_e32 v[2:3], s[14:15]
	s_nop 3
	global_store_dwordx4 v24, v[4:7], s[6:7]
	global_store_dwordx4 v24, v[0:3], s[6:7] offset:16
	global_store_dwordx4 v24, v[0:3], s[6:7] offset:32
	;; [unrolled: 1-line block ×3, first 2 shown]
	s_and_saveexec_b64 s[6:7], s[0:1]
	s_cbranch_execz .LBB3_271
; %bb.264:
	v_mov_b32_e32 v6, 0
	global_load_dwordx2 v[16:17], v6, s[2:3] offset:32 sc0 sc1
	global_load_dwordx2 v[0:1], v6, s[2:3] offset:40
	v_mov_b32_e32 v14, s4
	v_mov_b32_e32 v15, s5
	s_waitcnt vmcnt(0)
	v_readfirstlane_b32 s10, v0
	v_readfirstlane_b32 s11, v1
	s_and_b64 s[10:11], s[10:11], s[4:5]
	s_mul_i32 s11, s11, 24
	s_mul_hi_u32 s12, s10, 24
	s_mul_i32 s10, s10, 24
	s_add_i32 s11, s12, s11
	v_lshl_add_u64 v[4:5], v[8:9], 0, s[10:11]
	global_store_dwordx2 v[4:5], v[16:17], off
	buffer_wbl2 sc0 sc1
	s_waitcnt vmcnt(0)
	global_atomic_cmpswap_x2 v[2:3], v6, v[14:17], s[2:3] offset:32 sc0 sc1
	s_waitcnt vmcnt(0)
	v_cmp_ne_u64_e32 vcc, v[2:3], v[16:17]
	s_and_saveexec_b64 s[10:11], vcc
	s_cbranch_execz .LBB3_267
; %bb.265:
	s_mov_b64 s[12:13], 0
.LBB3_266:                              ; =>This Inner Loop Header: Depth=1
	s_sleep 1
	global_store_dwordx2 v[4:5], v[2:3], off
	v_mov_b32_e32 v0, s4
	v_mov_b32_e32 v1, s5
	buffer_wbl2 sc0 sc1
	s_waitcnt vmcnt(0)
	global_atomic_cmpswap_x2 v[0:1], v6, v[0:3], s[2:3] offset:32 sc0 sc1
	s_waitcnt vmcnt(0)
	v_cmp_eq_u64_e32 vcc, v[0:1], v[2:3]
	s_or_b64 s[12:13], vcc, s[12:13]
	v_mov_b64_e32 v[2:3], v[0:1]
	s_andn2_b64 exec, exec, s[12:13]
	s_cbranch_execnz .LBB3_266
.LBB3_267:
	s_or_b64 exec, exec, s[10:11]
	v_mov_b32_e32 v3, 0
	global_load_dwordx2 v[0:1], v3, s[2:3] offset:16
	s_mov_b64 s[10:11], exec
	v_mbcnt_lo_u32_b32 v2, s10, 0
	v_mbcnt_hi_u32_b32 v2, s11, v2
	v_cmp_eq_u32_e32 vcc, 0, v2
	s_and_saveexec_b64 s[12:13], vcc
	s_cbranch_execz .LBB3_269
; %bb.268:
	s_bcnt1_i32_b64 s10, s[10:11]
	v_mov_b32_e32 v2, s10
	buffer_wbl2 sc0 sc1
	s_waitcnt vmcnt(0)
	global_atomic_add_x2 v[0:1], v[2:3], off offset:8 sc1
.LBB3_269:
	s_or_b64 exec, exec, s[12:13]
	s_waitcnt vmcnt(0)
	global_load_dwordx2 v[2:3], v[0:1], off offset:16
	s_waitcnt vmcnt(0)
	v_cmp_eq_u64_e32 vcc, 0, v[2:3]
	s_cbranch_vccnz .LBB3_271
; %bb.270:
	global_load_dword v0, v[0:1], off offset:24
	v_mov_b32_e32 v1, 0
	s_waitcnt vmcnt(0)
	v_readfirstlane_b32 s10, v0
	s_and_b32 m0, s10, 0xffffff
	buffer_wbl2 sc0 sc1
	global_store_dwordx2 v[2:3], v[0:1], off sc0 sc1
	s_sendmsg sendmsg(MSG_INTERRUPT)
.LBB3_271:
	s_or_b64 exec, exec, s[6:7]
	v_lshl_add_u64 v[0:1], v[10:11], 0, v[24:25]
	s_branch .LBB3_275
.LBB3_272:                              ;   in Loop: Header=BB3_275 Depth=1
	s_or_b64 exec, exec, s[6:7]
	v_readfirstlane_b32 s6, v2
	s_cmp_eq_u32 s6, 0
	s_cbranch_scc1 .LBB3_274
; %bb.273:                              ;   in Loop: Header=BB3_275 Depth=1
	s_sleep 1
	s_cbranch_execnz .LBB3_275
	s_branch .LBB3_277
.LBB3_274:
	s_branch .LBB3_277
.LBB3_275:                              ; =>This Inner Loop Header: Depth=1
	v_mov_b32_e32 v2, 1
	s_and_saveexec_b64 s[6:7], s[0:1]
	s_cbranch_execz .LBB3_272
; %bb.276:                              ;   in Loop: Header=BB3_275 Depth=1
	global_load_dword v2, v[12:13], off offset:20 sc0 sc1
	s_waitcnt vmcnt(0)
	buffer_inv sc0 sc1
	v_and_b32_e32 v2, 1, v2
	s_branch .LBB3_272
.LBB3_277:
	global_load_dwordx2 v[0:1], v[0:1], off
	s_and_saveexec_b64 s[6:7], s[0:1]
	s_cbranch_execz .LBB3_280
; %bb.278:
	v_mov_b32_e32 v8, 0
	global_load_dwordx2 v[2:3], v8, s[2:3] offset:40
	global_load_dwordx2 v[12:13], v8, s[2:3] offset:24 sc0 sc1
	global_load_dwordx2 v[4:5], v8, s[2:3]
	s_waitcnt vmcnt(2)
	v_readfirstlane_b32 s10, v2
	v_readfirstlane_b32 s11, v3
	s_add_u32 s12, s10, 1
	s_addc_u32 s13, s11, 0
	s_add_u32 s0, s12, s4
	s_addc_u32 s1, s13, s5
	s_cmp_eq_u64 s[0:1], 0
	s_cselect_b32 s1, s13, s1
	s_cselect_b32 s0, s12, s0
	s_and_b64 s[4:5], s[0:1], s[10:11]
	s_mul_i32 s5, s5, 24
	s_mul_hi_u32 s10, s4, 24
	s_mul_i32 s4, s4, 24
	s_add_i32 s5, s10, s5
	s_waitcnt vmcnt(0)
	v_lshl_add_u64 v[6:7], v[4:5], 0, s[4:5]
	v_mov_b32_e32 v10, s0
	global_store_dwordx2 v[6:7], v[12:13], off
	v_mov_b32_e32 v11, s1
	buffer_wbl2 sc0 sc1
	s_waitcnt vmcnt(0)
	global_atomic_cmpswap_x2 v[4:5], v8, v[10:13], s[2:3] offset:24 sc0 sc1
	s_mov_b64 s[4:5], 0
	s_waitcnt vmcnt(0)
	v_cmp_ne_u64_e32 vcc, v[4:5], v[12:13]
	s_and_b64 exec, exec, vcc
	s_cbranch_execz .LBB3_280
.LBB3_279:                              ; =>This Inner Loop Header: Depth=1
	s_sleep 1
	global_store_dwordx2 v[6:7], v[4:5], off
	v_mov_b32_e32 v2, s0
	v_mov_b32_e32 v3, s1
	buffer_wbl2 sc0 sc1
	s_waitcnt vmcnt(0)
	global_atomic_cmpswap_x2 v[2:3], v8, v[2:5], s[2:3] offset:24 sc0 sc1
	s_waitcnt vmcnt(0)
	v_cmp_eq_u64_e32 vcc, v[2:3], v[4:5]
	s_or_b64 s[4:5], vcc, s[4:5]
	v_mov_b64_e32 v[4:5], v[2:3]
	s_andn2_b64 exec, exec, s[4:5]
	s_cbranch_execnz .LBB3_279
.LBB3_280:
	s_or_b64 exec, exec, s[6:7]
	s_getpc_b64 s[0:1]
	s_add_u32 s0, s0, __FUNCTION__._ZL18flash_attn_ext_f16ILi192ELi128ELi2ELi16ELb1ELb0EEvPKcS1_S1_S1_S1_PKiPfP15HIP_vector_typeIfLj2EEffffjfiS5_IjLj3EEiiiiiiiiiiiliiliiiiil@rel32@lo+4
	s_addc_u32 s1, s1, __FUNCTION__._ZL18flash_attn_ext_f16ILi192ELi128ELi2ELi16ELb1ELb0EEvPKcS1_S1_S1_S1_PKiPfP15HIP_vector_typeIfLj2EEffffjfiS5_IjLj3EEiiiiiiiiiiiliiliiiiil@rel32@hi+12
	s_cmp_lg_u64 s[0:1], 0
	s_cselect_b32 s4, 19, 0
	s_getpc_b64 s[2:3]
	s_add_u32 s2, s2, __ockl_printf_append_string_n@rel32@lo+4
	s_addc_u32 s3, s3, __ockl_printf_append_string_n@rel32@hi+12
	v_mov_b32_e32 v2, s0
	v_mov_b32_e32 v3, s1
	;; [unrolled: 1-line block ×4, first 2 shown]
	s_mov_b64 s[18:19], s[8:9]
	s_swappc_b64 s[30:31], s[2:3]
	s_getpc_b64 s[0:1]
	s_add_u32 s0, s0, __ockl_printf_append_args@rel32@lo+4
	s_addc_u32 s1, s1, __ockl_printf_append_args@rel32@hi+12
	s_mov_b64 s[8:9], s[18:19]
	v_mov_b32_e32 v2, 0x514
	v_mov_b32_e32 v3, 0
	;; [unrolled: 1-line block ×3, first 2 shown]
	s_swappc_b64 s[30:31], s[0:1]
	s_trap 2
.Lfunc_end3:
	.size	_ZL14no_device_codePKciS0_iS0_, .Lfunc_end3-_ZL14no_device_codePKciS0_iS0_
                                        ; -- End function
	.set .L_ZL14no_device_codePKciS0_iS0_.num_vgpr, max(41, .L__ockl_printf_append_string_n.num_vgpr, .L__ockl_printf_append_args.num_vgpr)
	.set .L_ZL14no_device_codePKciS0_iS0_.num_agpr, max(0, .L__ockl_printf_append_string_n.num_agpr, .L__ockl_printf_append_args.num_agpr)
	.set .L_ZL14no_device_codePKciS0_iS0_.numbered_sgpr, max(34, .L__ockl_printf_append_string_n.numbered_sgpr, .L__ockl_printf_append_args.numbered_sgpr)
	.set .L_ZL14no_device_codePKciS0_iS0_.num_named_barrier, max(0, .L__ockl_printf_append_string_n.num_named_barrier, .L__ockl_printf_append_args.num_named_barrier)
	.set .L_ZL14no_device_codePKciS0_iS0_.private_seg_size, 16+max(.L__ockl_printf_append_string_n.private_seg_size, .L__ockl_printf_append_args.private_seg_size)
	.set .L_ZL14no_device_codePKciS0_iS0_.uses_vcc, or(1, .L__ockl_printf_append_string_n.uses_vcc, .L__ockl_printf_append_args.uses_vcc)
	.set .L_ZL14no_device_codePKciS0_iS0_.uses_flat_scratch, or(0, .L__ockl_printf_append_string_n.uses_flat_scratch, .L__ockl_printf_append_args.uses_flat_scratch)
	.set .L_ZL14no_device_codePKciS0_iS0_.has_dyn_sized_stack, or(0, .L__ockl_printf_append_string_n.has_dyn_sized_stack, .L__ockl_printf_append_args.has_dyn_sized_stack)
	.set .L_ZL14no_device_codePKciS0_iS0_.has_recursion, or(0, .L__ockl_printf_append_string_n.has_recursion, .L__ockl_printf_append_args.has_recursion)
	.set .L_ZL14no_device_codePKciS0_iS0_.has_indirect_call, or(0, .L__ockl_printf_append_string_n.has_indirect_call, .L__ockl_printf_append_args.has_indirect_call)
	.section	.AMDGPU.csdata,"",@progbits
; Function info:
; codeLenInByte = 9528
; TotalNumSgprs: 40
; NumVgprs: 52
; NumAgprs: 0
; TotalNumVgprs: 52
; ScratchSize: 16
; MemoryBound: 0
	.section	.text._ZL18flash_attn_ext_f16ILi192ELi128ELi2ELi16ELb1ELb0EEvPKcS1_S1_S1_S1_PKiPfP15HIP_vector_typeIfLj2EEffffjfiS5_IjLj3EEiiiiiiiiiiiliiliiiiil,"axG",@progbits,_ZL18flash_attn_ext_f16ILi192ELi128ELi2ELi16ELb1ELb0EEvPKcS1_S1_S1_S1_PKiPfP15HIP_vector_typeIfLj2EEffffjfiS5_IjLj3EEiiiiiiiiiiiliiliiiiil,comdat
	.globl	_ZL18flash_attn_ext_f16ILi192ELi128ELi2ELi16ELb1ELb0EEvPKcS1_S1_S1_S1_PKiPfP15HIP_vector_typeIfLj2EEffffjfiS5_IjLj3EEiiiiiiiiiiiliiliiiiil ; -- Begin function _ZL18flash_attn_ext_f16ILi192ELi128ELi2ELi16ELb1ELb0EEvPKcS1_S1_S1_S1_PKiPfP15HIP_vector_typeIfLj2EEffffjfiS5_IjLj3EEiiiiiiiiiiiliiliiiiil
	.p2align	8
	.type	_ZL18flash_attn_ext_f16ILi192ELi128ELi2ELi16ELb1ELb0EEvPKcS1_S1_S1_S1_PKiPfP15HIP_vector_typeIfLj2EEffffjfiS5_IjLj3EEiiiiiiiiiiiliiliiiiil,@function
_ZL18flash_attn_ext_f16ILi192ELi128ELi2ELi16ELb1ELb0EEvPKcS1_S1_S1_S1_PKiPfP15HIP_vector_typeIfLj2EEffffjfiS5_IjLj3EEiiiiiiiiiiiliiliiiiil: ; @_ZL18flash_attn_ext_f16ILi192ELi128ELi2ELi16ELb1ELb0EEvPKcS1_S1_S1_S1_PKiPfP15HIP_vector_typeIfLj2EEffffjfiS5_IjLj3EEiiiiiiiiiiiliiliiiiil
; %bb.0:
	s_add_u32 s8, s0, 0xd0
	s_addc_u32 s9, s1, 0
	s_getpc_b64 s[0:1]
	s_add_u32 s0, s0, _ZL14no_device_codePKciS0_iS0_@rel32@lo+4
	s_addc_u32 s1, s1, _ZL14no_device_codePKciS0_iS0_@rel32@hi+12
	v_mov_b32_e32 v0, 0x6cc
	s_mov_b32 s32, 0
	s_swappc_b64 s[30:31], s[0:1]
	.section	.rodata,"a",@progbits
	.p2align	6, 0x0
	.amdhsa_kernel _ZL18flash_attn_ext_f16ILi192ELi128ELi2ELi16ELb1ELb0EEvPKcS1_S1_S1_S1_PKiPfP15HIP_vector_typeIfLj2EEffffjfiS5_IjLj3EEiiiiiiiiiiiliiliiiiil
		.amdhsa_group_segment_fixed_size 0
		.amdhsa_private_segment_fixed_size 16
		.amdhsa_kernarg_size 464
		.amdhsa_user_sgpr_count 2
		.amdhsa_user_sgpr_dispatch_ptr 0
		.amdhsa_user_sgpr_queue_ptr 0
		.amdhsa_user_sgpr_kernarg_segment_ptr 1
		.amdhsa_user_sgpr_dispatch_id 0
		.amdhsa_user_sgpr_kernarg_preload_length 0
		.amdhsa_user_sgpr_kernarg_preload_offset 0
		.amdhsa_user_sgpr_private_segment_size 0
		.amdhsa_uses_dynamic_stack 0
		.amdhsa_enable_private_segment 1
		.amdhsa_system_sgpr_workgroup_id_x 1
		.amdhsa_system_sgpr_workgroup_id_y 0
		.amdhsa_system_sgpr_workgroup_id_z 0
		.amdhsa_system_sgpr_workgroup_info 0
		.amdhsa_system_vgpr_workitem_id 0
		.amdhsa_next_free_vgpr 52
		.amdhsa_next_free_sgpr 34
		.amdhsa_accum_offset 52
		.amdhsa_reserve_vcc 1
		.amdhsa_float_round_mode_32 0
		.amdhsa_float_round_mode_16_64 0
		.amdhsa_float_denorm_mode_32 3
		.amdhsa_float_denorm_mode_16_64 3
		.amdhsa_dx10_clamp 1
		.amdhsa_ieee_mode 1
		.amdhsa_fp16_overflow 0
		.amdhsa_tg_split 0
		.amdhsa_exception_fp_ieee_invalid_op 0
		.amdhsa_exception_fp_denorm_src 0
		.amdhsa_exception_fp_ieee_div_zero 0
		.amdhsa_exception_fp_ieee_overflow 0
		.amdhsa_exception_fp_ieee_underflow 0
		.amdhsa_exception_fp_ieee_inexact 0
		.amdhsa_exception_int_div_zero 0
	.end_amdhsa_kernel
	.section	.text._ZL18flash_attn_ext_f16ILi192ELi128ELi2ELi16ELb1ELb0EEvPKcS1_S1_S1_S1_PKiPfP15HIP_vector_typeIfLj2EEffffjfiS5_IjLj3EEiiiiiiiiiiiliiliiiiil,"axG",@progbits,_ZL18flash_attn_ext_f16ILi192ELi128ELi2ELi16ELb1ELb0EEvPKcS1_S1_S1_S1_PKiPfP15HIP_vector_typeIfLj2EEffffjfiS5_IjLj3EEiiiiiiiiiiiliiliiiiil,comdat
.Lfunc_end4:
	.size	_ZL18flash_attn_ext_f16ILi192ELi128ELi2ELi16ELb1ELb0EEvPKcS1_S1_S1_S1_PKiPfP15HIP_vector_typeIfLj2EEffffjfiS5_IjLj3EEiiiiiiiiiiiliiliiiiil, .Lfunc_end4-_ZL18flash_attn_ext_f16ILi192ELi128ELi2ELi16ELb1ELb0EEvPKcS1_S1_S1_S1_PKiPfP15HIP_vector_typeIfLj2EEffffjfiS5_IjLj3EEiiiiiiiiiiiliiliiiiil
                                        ; -- End function
	.set _ZL18flash_attn_ext_f16ILi192ELi128ELi2ELi16ELb1ELb0EEvPKcS1_S1_S1_S1_PKiPfP15HIP_vector_typeIfLj2EEffffjfiS5_IjLj3EEiiiiiiiiiiiliiliiiiil.num_vgpr, max(1, .L_ZL14no_device_codePKciS0_iS0_.num_vgpr)
	.set _ZL18flash_attn_ext_f16ILi192ELi128ELi2ELi16ELb1ELb0EEvPKcS1_S1_S1_S1_PKiPfP15HIP_vector_typeIfLj2EEffffjfiS5_IjLj3EEiiiiiiiiiiiliiliiiiil.num_agpr, max(0, .L_ZL14no_device_codePKciS0_iS0_.num_agpr)
	.set _ZL18flash_attn_ext_f16ILi192ELi128ELi2ELi16ELb1ELb0EEvPKcS1_S1_S1_S1_PKiPfP15HIP_vector_typeIfLj2EEffffjfiS5_IjLj3EEiiiiiiiiiiiliiliiiiil.numbered_sgpr, max(33, .L_ZL14no_device_codePKciS0_iS0_.numbered_sgpr)
	.set _ZL18flash_attn_ext_f16ILi192ELi128ELi2ELi16ELb1ELb0EEvPKcS1_S1_S1_S1_PKiPfP15HIP_vector_typeIfLj2EEffffjfiS5_IjLj3EEiiiiiiiiiiiliiliiiiil.num_named_barrier, max(0, .L_ZL14no_device_codePKciS0_iS0_.num_named_barrier)
	.set _ZL18flash_attn_ext_f16ILi192ELi128ELi2ELi16ELb1ELb0EEvPKcS1_S1_S1_S1_PKiPfP15HIP_vector_typeIfLj2EEffffjfiS5_IjLj3EEiiiiiiiiiiiliiliiiiil.private_seg_size, 0+max(.L_ZL14no_device_codePKciS0_iS0_.private_seg_size)
	.set _ZL18flash_attn_ext_f16ILi192ELi128ELi2ELi16ELb1ELb0EEvPKcS1_S1_S1_S1_PKiPfP15HIP_vector_typeIfLj2EEffffjfiS5_IjLj3EEiiiiiiiiiiiliiliiiiil.uses_vcc, or(1, .L_ZL14no_device_codePKciS0_iS0_.uses_vcc)
	.set _ZL18flash_attn_ext_f16ILi192ELi128ELi2ELi16ELb1ELb0EEvPKcS1_S1_S1_S1_PKiPfP15HIP_vector_typeIfLj2EEffffjfiS5_IjLj3EEiiiiiiiiiiiliiliiiiil.uses_flat_scratch, or(0, .L_ZL14no_device_codePKciS0_iS0_.uses_flat_scratch)
	.set _ZL18flash_attn_ext_f16ILi192ELi128ELi2ELi16ELb1ELb0EEvPKcS1_S1_S1_S1_PKiPfP15HIP_vector_typeIfLj2EEffffjfiS5_IjLj3EEiiiiiiiiiiiliiliiiiil.has_dyn_sized_stack, or(0, .L_ZL14no_device_codePKciS0_iS0_.has_dyn_sized_stack)
	.set _ZL18flash_attn_ext_f16ILi192ELi128ELi2ELi16ELb1ELb0EEvPKcS1_S1_S1_S1_PKiPfP15HIP_vector_typeIfLj2EEffffjfiS5_IjLj3EEiiiiiiiiiiiliiliiiiil.has_recursion, or(0, .L_ZL14no_device_codePKciS0_iS0_.has_recursion)
	.set _ZL18flash_attn_ext_f16ILi192ELi128ELi2ELi16ELb1ELb0EEvPKcS1_S1_S1_S1_PKiPfP15HIP_vector_typeIfLj2EEffffjfiS5_IjLj3EEiiiiiiiiiiiliiliiiiil.has_indirect_call, or(0, .L_ZL14no_device_codePKciS0_iS0_.has_indirect_call)
	.section	.AMDGPU.csdata,"",@progbits
; Kernel info:
; codeLenInByte = 48
; TotalNumSgprs: 40
; NumVgprs: 52
; NumAgprs: 0
; TotalNumVgprs: 52
; ScratchSize: 16
; MemoryBound: 0
; FloatMode: 240
; IeeeMode: 1
; LDSByteSize: 0 bytes/workgroup (compile time only)
; SGPRBlocks: 4
; VGPRBlocks: 6
; NumSGPRsForWavesPerEU: 40
; NumVGPRsForWavesPerEU: 52
; AccumOffset: 52
; Occupancy: 8
; WaveLimiterHint : 1
; COMPUTE_PGM_RSRC2:SCRATCH_EN: 1
; COMPUTE_PGM_RSRC2:USER_SGPR: 2
; COMPUTE_PGM_RSRC2:TRAP_HANDLER: 0
; COMPUTE_PGM_RSRC2:TGID_X_EN: 1
; COMPUTE_PGM_RSRC2:TGID_Y_EN: 0
; COMPUTE_PGM_RSRC2:TGID_Z_EN: 0
; COMPUTE_PGM_RSRC2:TIDIG_COMP_CNT: 0
; COMPUTE_PGM_RSRC3_GFX90A:ACCUM_OFFSET: 12
; COMPUTE_PGM_RSRC3_GFX90A:TG_SPLIT: 0
	.section	.text._ZL25flash_attn_mask_to_KV_maxILi2EEvPK7__half2Piiii,"axG",@progbits,_ZL25flash_attn_mask_to_KV_maxILi2EEvPK7__half2Piiii,comdat
	.globl	_ZL25flash_attn_mask_to_KV_maxILi2EEvPK7__half2Piiii ; -- Begin function _ZL25flash_attn_mask_to_KV_maxILi2EEvPK7__half2Piiii
	.p2align	8
	.type	_ZL25flash_attn_mask_to_KV_maxILi2EEvPK7__half2Piiii,@function
_ZL25flash_attn_mask_to_KV_maxILi2EEvPK7__half2Piiii: ; @_ZL25flash_attn_mask_to_KV_maxILi2EEvPK7__half2Piiii
; %bb.0:
	s_load_dwordx4 s[4:7], s[0:1], 0x0
	v_cmp_gt_u32_e32 vcc, 32, v0
	s_and_saveexec_b64 s[8:9], vcc
; %bb.1:
	v_lshlrev_b32_e32 v1, 2, v0
	v_mov_b32_e32 v2, 1
	ds_write_b32 v1, v2
; %bb.2:
	s_or_b64 exec, exec, s[8:9]
	s_load_dwordx4 s[8:11], s[0:1], 0x10
	s_load_dword s16, s[0:1], 0x20
	v_and_b32_e32 v2, 31, v0
	v_lshlrev_b32_e32 v4, 2, v2
	v_lshrrev_b32_e32 v1, 3, v0
	s_waitcnt lgkmcnt(0)
	s_mul_i32 s1, s2, s9
	s_mul_i32 s0, s10, s3
	s_lshl_b32 s1, s1, 1
	s_add_i32 s0, s0, s1
	s_ashr_i32 s1, s0, 31
	s_lshl_b64 s[0:1], s[0:1], 2
	s_add_u32 s10, s4, s0
	s_addc_u32 s11, s5, s1
	v_cmp_eq_u32_e64 s[0:1], 0, v2
	v_mbcnt_lo_u32_b32 v2, -1, 0
	v_mbcnt_hi_u32_b32 v5, -1, v2
	v_and_b32_e32 v2, 0x60, v5
	s_lshl_b32 s8, s8, 8
	s_mov_b64 s[12:13], 0
	v_mov_b32_e32 v3, 0
	s_movk_i32 s17, 0x204
	v_add_u32_e32 v6, 32, v2
	v_xor_b32_e32 v7, 16, v5
	v_xor_b32_e32 v8, 8, v5
	;; [unrolled: 1-line block ×5, first 2 shown]
	s_barrier
                                        ; implicit-def: $sgpr4_sgpr5
	s_branch .LBB5_5
.LBB5_3:                                ;   in Loop: Header=BB5_5 Depth=1
	s_or_b64 exec, exec, s[14:15]
	s_waitcnt lgkmcnt(0)
	s_barrier
	ds_read_b32 v16, v4
	s_waitcnt lgkmcnt(0)
	s_barrier
	ds_bpermute_b32 v2, v2, v16
	v_cmp_ne_u32_e32 vcc, 0, v16
	s_waitcnt lgkmcnt(0)
	v_cmp_ne_u32_e64 s[4:5], 0, v2
	s_and_b64 s[4:5], vcc, s[4:5]
	s_nop 0
	v_cndmask_b32_e64 v2, 0, 1, s[4:5]
	ds_bpermute_b32 v2, v12, v2
	s_waitcnt lgkmcnt(0)
	v_cmp_ne_u32_e32 vcc, 0, v2
	s_and_b64 s[4:5], vcc, s[4:5]
	v_cndmask_b32_e64 v2, 0, 1, s[4:5]
	ds_bpermute_b32 v2, v13, v2
	s_waitcnt lgkmcnt(0)
	v_cmp_ne_u32_e32 vcc, 0, v2
	s_and_b64 s[4:5], vcc, s[4:5]
	;; [unrolled: 5-line block ×3, first 2 shown]
	v_cndmask_b32_e64 v2, 0, 1, s[4:5]
	ds_bpermute_b32 v2, v15, v2
	s_xor_b64 s[4:5], s[4:5], -1
	s_waitcnt lgkmcnt(0)
	v_cmp_eq_u32_e32 vcc, 0, v2
	s_or_b64 s[4:5], vcc, s[4:5]
.LBB5_4:                                ;   in Loop: Header=BB5_5 Depth=1
	s_and_b64 s[14:15], exec, s[4:5]
	s_or_b64 s[12:13], s[14:15], s[12:13]
	v_mov_b32_e32 v2, s8
	s_mov_b32 s8, s18
	s_andn2_b64 exec, exec, s[12:13]
	s_cbranch_execz .LBB5_12
.LBB5_5:                                ; =>This Inner Loop Header: Depth=1
	s_add_i32 s18, s8, 0xffffff00
	s_or_b64 s[4:5], s[4:5], exec
	s_cmp_lt_i32 s18, 0
	s_cbranch_scc1 .LBB5_4
; %bb.6:                                ;   in Loop: Header=BB5_5 Depth=1
	s_lshr_b32 s4, s18, 1
	v_add_u32_e32 v2, s4, v0
	v_lshl_add_u64 v[12:13], v[2:3], 2, s[10:11]
	global_load_dword v12, v[12:13], off
	s_waitcnt vmcnt(0)
	v_cmp_class_f16_e64 s[4:5], v12, s17
	v_cmp_class_f16_sdwa s[14:15], v12, s17 src0_sel:WORD_1 src1_sel:DWORD
	s_and_b64 s[14:15], s[4:5], s[14:15]
	v_mov_b32_e32 v12, 0
	s_and_saveexec_b64 s[4:5], s[14:15]
	s_cbranch_execz .LBB5_10
; %bb.7:                                ;   in Loop: Header=BB5_5 Depth=1
	v_add_u32_e32 v12, s9, v2
	v_ashrrev_i32_e32 v13, 31, v12
	v_lshl_add_u64 v[12:13], v[12:13], 2, s[10:11]
	global_load_dword v2, v[12:13], off
	v_mov_b32_e32 v12, 0
	s_waitcnt vmcnt(0)
	v_cmp_class_f16_e64 s[20:21], v2, s17
	s_and_saveexec_b64 s[14:15], s[20:21]
; %bb.8:                                ;   in Loop: Header=BB5_5 Depth=1
	v_cmp_class_f16_sdwa s[20:21], v2, s17 src0_sel:WORD_1 src1_sel:DWORD
	s_nop 1
	v_cndmask_b32_e64 v12, 0, 1, s[20:21]
; %bb.9:                                ;   in Loop: Header=BB5_5 Depth=1
	s_or_b64 exec, exec, s[14:15]
.LBB5_10:                               ;   in Loop: Header=BB5_5 Depth=1
	s_or_b64 exec, exec, s[4:5]
	v_cmp_lt_i32_e32 vcc, v7, v6
	s_nop 1
	v_cndmask_b32_e32 v2, v5, v7, vcc
	v_lshlrev_b32_e32 v2, 2, v2
	ds_bpermute_b32 v13, v2, v12
	v_cmp_ne_u32_e32 vcc, 0, v12
	s_waitcnt lgkmcnt(0)
	v_cmp_ne_u32_e64 s[4:5], 0, v13
	s_and_b64 s[4:5], vcc, s[4:5]
	v_cmp_lt_i32_e32 vcc, v8, v6
	v_cndmask_b32_e64 v13, 0, 1, s[4:5]
	s_nop 0
	v_cndmask_b32_e32 v12, v5, v8, vcc
	v_lshlrev_b32_e32 v12, 2, v12
	ds_bpermute_b32 v13, v12, v13
	s_waitcnt lgkmcnt(0)
	v_cmp_ne_u32_e32 vcc, 0, v13
	s_and_b64 s[4:5], vcc, s[4:5]
	v_cmp_lt_i32_e32 vcc, v9, v6
	v_cndmask_b32_e64 v14, 0, 1, s[4:5]
	s_nop 0
	v_cndmask_b32_e32 v13, v5, v9, vcc
	v_lshlrev_b32_e32 v13, 2, v13
	ds_bpermute_b32 v14, v13, v14
	s_waitcnt lgkmcnt(0)
	v_cmp_ne_u32_e32 vcc, 0, v14
	;; [unrolled: 9-line block ×3, first 2 shown]
	s_and_b64 s[4:5], vcc, s[4:5]
	v_cmp_lt_i32_e32 vcc, v11, v6
	v_cndmask_b32_e64 v16, 0, 1, s[4:5]
	s_nop 0
	v_cndmask_b32_e32 v15, v5, v11, vcc
	v_lshlrev_b32_e32 v15, 2, v15
	ds_bpermute_b32 v16, v15, v16
	s_and_saveexec_b64 s[14:15], s[0:1]
	s_cbranch_execz .LBB5_3
; %bb.11:                               ;   in Loop: Header=BB5_5 Depth=1
	s_waitcnt lgkmcnt(0)
	v_cmp_ne_u32_e32 vcc, 0, v16
	s_and_b64 s[4:5], vcc, s[4:5]
	v_cndmask_b32_e64 v16, 0, 1, s[4:5]
	ds_write_b32 v1, v16
	s_branch .LBB5_3
.LBB5_12:
	s_or_b64 exec, exec, s[12:13]
	v_cmp_eq_u32_e32 vcc, 0, v0
	s_and_saveexec_b64 s[0:1], vcc
	s_cbranch_execz .LBB5_14
; %bb.13:
	s_mul_i32 s0, s16, s3
	s_add_i32 s0, s0, s2
	s_ashr_i32 s1, s0, 31
	s_lshl_b64 s[0:1], s[0:1], 2
	s_add_u32 s0, s6, s0
	s_addc_u32 s1, s7, s1
	v_mov_b32_e32 v0, 0
	global_store_dword v0, v2, s[0:1]
.LBB5_14:
	s_endpgm
	.section	.rodata,"a",@progbits
	.p2align	6, 0x0
	.amdhsa_kernel _ZL25flash_attn_mask_to_KV_maxILi2EEvPK7__half2Piiii
		.amdhsa_group_segment_fixed_size 128
		.amdhsa_private_segment_fixed_size 0
		.amdhsa_kernarg_size 288
		.amdhsa_user_sgpr_count 2
		.amdhsa_user_sgpr_dispatch_ptr 0
		.amdhsa_user_sgpr_queue_ptr 0
		.amdhsa_user_sgpr_kernarg_segment_ptr 1
		.amdhsa_user_sgpr_dispatch_id 0
		.amdhsa_user_sgpr_kernarg_preload_length 0
		.amdhsa_user_sgpr_kernarg_preload_offset 0
		.amdhsa_user_sgpr_private_segment_size 0
		.amdhsa_uses_dynamic_stack 0
		.amdhsa_enable_private_segment 0
		.amdhsa_system_sgpr_workgroup_id_x 1
		.amdhsa_system_sgpr_workgroup_id_y 1
		.amdhsa_system_sgpr_workgroup_id_z 0
		.amdhsa_system_sgpr_workgroup_info 0
		.amdhsa_system_vgpr_workitem_id 0
		.amdhsa_next_free_vgpr 17
		.amdhsa_next_free_sgpr 22
		.amdhsa_accum_offset 20
		.amdhsa_reserve_vcc 1
		.amdhsa_float_round_mode_32 0
		.amdhsa_float_round_mode_16_64 0
		.amdhsa_float_denorm_mode_32 3
		.amdhsa_float_denorm_mode_16_64 3
		.amdhsa_dx10_clamp 1
		.amdhsa_ieee_mode 1
		.amdhsa_fp16_overflow 0
		.amdhsa_tg_split 0
		.amdhsa_exception_fp_ieee_invalid_op 0
		.amdhsa_exception_fp_denorm_src 0
		.amdhsa_exception_fp_ieee_div_zero 0
		.amdhsa_exception_fp_ieee_overflow 0
		.amdhsa_exception_fp_ieee_underflow 0
		.amdhsa_exception_fp_ieee_inexact 0
		.amdhsa_exception_int_div_zero 0
	.end_amdhsa_kernel
	.section	.text._ZL25flash_attn_mask_to_KV_maxILi2EEvPK7__half2Piiii,"axG",@progbits,_ZL25flash_attn_mask_to_KV_maxILi2EEvPK7__half2Piiii,comdat
.Lfunc_end5:
	.size	_ZL25flash_attn_mask_to_KV_maxILi2EEvPK7__half2Piiii, .Lfunc_end5-_ZL25flash_attn_mask_to_KV_maxILi2EEvPK7__half2Piiii
                                        ; -- End function
	.set _ZL25flash_attn_mask_to_KV_maxILi2EEvPK7__half2Piiii.num_vgpr, 17
	.set _ZL25flash_attn_mask_to_KV_maxILi2EEvPK7__half2Piiii.num_agpr, 0
	.set _ZL25flash_attn_mask_to_KV_maxILi2EEvPK7__half2Piiii.numbered_sgpr, 22
	.set _ZL25flash_attn_mask_to_KV_maxILi2EEvPK7__half2Piiii.num_named_barrier, 0
	.set _ZL25flash_attn_mask_to_KV_maxILi2EEvPK7__half2Piiii.private_seg_size, 0
	.set _ZL25flash_attn_mask_to_KV_maxILi2EEvPK7__half2Piiii.uses_vcc, 1
	.set _ZL25flash_attn_mask_to_KV_maxILi2EEvPK7__half2Piiii.uses_flat_scratch, 0
	.set _ZL25flash_attn_mask_to_KV_maxILi2EEvPK7__half2Piiii.has_dyn_sized_stack, 0
	.set _ZL25flash_attn_mask_to_KV_maxILi2EEvPK7__half2Piiii.has_recursion, 0
	.set _ZL25flash_attn_mask_to_KV_maxILi2EEvPK7__half2Piiii.has_indirect_call, 0
	.section	.AMDGPU.csdata,"",@progbits
; Kernel info:
; codeLenInByte = 836
; TotalNumSgprs: 28
; NumVgprs: 17
; NumAgprs: 0
; TotalNumVgprs: 17
; ScratchSize: 0
; MemoryBound: 0
; FloatMode: 240
; IeeeMode: 1
; LDSByteSize: 128 bytes/workgroup (compile time only)
; SGPRBlocks: 3
; VGPRBlocks: 2
; NumSGPRsForWavesPerEU: 28
; NumVGPRsForWavesPerEU: 17
; AccumOffset: 20
; Occupancy: 8
; WaveLimiterHint : 0
; COMPUTE_PGM_RSRC2:SCRATCH_EN: 0
; COMPUTE_PGM_RSRC2:USER_SGPR: 2
; COMPUTE_PGM_RSRC2:TRAP_HANDLER: 0
; COMPUTE_PGM_RSRC2:TGID_X_EN: 1
; COMPUTE_PGM_RSRC2:TGID_Y_EN: 1
; COMPUTE_PGM_RSRC2:TGID_Z_EN: 0
; COMPUTE_PGM_RSRC2:TIDIG_COMP_CNT: 0
; COMPUTE_PGM_RSRC3_GFX90A:ACCUM_OFFSET: 4
; COMPUTE_PGM_RSRC3_GFX90A:TG_SPLIT: 0
	.section	.text._ZL33flash_attn_stream_k_fixup_uniformILi128ELi2ELi16EEvPfPK15HIP_vector_typeIfLj2EEiiiiiiS1_IjLj3EES5_S5_,"axG",@progbits,_ZL33flash_attn_stream_k_fixup_uniformILi128ELi2ELi16EEvPfPK15HIP_vector_typeIfLj2EEiiiiiiS1_IjLj3EES5_S5_,comdat
	.globl	_ZL33flash_attn_stream_k_fixup_uniformILi128ELi2ELi16EEvPfPK15HIP_vector_typeIfLj2EEiiiiiiS1_IjLj3EES5_S5_ ; -- Begin function _ZL33flash_attn_stream_k_fixup_uniformILi128ELi2ELi16EEvPfPK15HIP_vector_typeIfLj2EEiiiiiiS1_IjLj3EES5_S5_
	.p2align	8
	.type	_ZL33flash_attn_stream_k_fixup_uniformILi128ELi2ELi16EEvPfPK15HIP_vector_typeIfLj2EEiiiiiiS1_IjLj3EES5_S5_,@function
_ZL33flash_attn_stream_k_fixup_uniformILi128ELi2ELi16EEvPfPK15HIP_vector_typeIfLj2EEiiiiiiS1_IjLj3EES5_S5_: ; @_ZL33flash_attn_stream_k_fixup_uniformILi128ELi2ELi16EEvPfPK15HIP_vector_typeIfLj2EEiiiiiiS1_IjLj3EES5_S5_
; %bb.0:
	s_load_dwordx8 s[8:15], s[0:1], 0x1c
	s_load_dwordx2 s[6:7], s[0:1], 0x10
	s_load_dwordx4 s[20:23], s[0:1], 0x3c
	s_waitcnt lgkmcnt(0)
	s_mul_hi_u32 s5, s11, s2
	s_add_i32 s5, s2, s5
	s_lshr_b32 s5, s5, s12
	s_mul_i32 s11, s5, s13
	s_sub_i32 s11, s2, s11
	s_mul_hi_u32 s12, s11, s14
	s_add_i32 s12, s11, s12
	s_lshr_b32 s16, s12, s15
	s_mul_i32 s12, s16, s20
	s_sub_i32 s11, s11, s12
	;; [unrolled: 5-line block ×3, first 2 shown]
	s_lshl_b32 s11, s12, 4
	s_lshl_b32 s12, s17, 1
	s_add_i32 s12, s12, s3
	s_cmp_lt_i32 s12, s6
	s_cselect_b64 s[12:13], -1, 0
	s_add_i32 s14, s11, s4
	s_cmp_lt_i32 s14, s9
	s_cselect_b64 s[14:15], -1, 0
	s_and_b64 s[12:13], s[12:13], s[14:15]
	s_andn2_b64 vcc, exec, s[12:13]
	s_cbranch_vccnz .LBB6_6
; %bb.1:
	s_load_dwordx4 s[12:15], s[0:1], 0x0
	s_mul_i32 s0, s5, s6
	s_add_i32 s0, s0, s3
	s_mul_i32 s0, s0, s7
	s_mul_i32 s16, s16, s9
	s_add_i32 s0, s0, s4
	s_add_i32 s0, s0, s16
	s_mul_i32 s1, s7, s17
	s_add_i32 s0, s0, s11
	s_lshl_b32 s1, s1, 8
	s_lshl_b32 s0, s0, 7
	s_add_i32 s1, s1, s0
	v_or_b32_e32 v4, s1, v0
	s_waitcnt lgkmcnt(0)
	v_mov_b32_e32 v2, s12
	v_mov_b32_e32 v3, s13
	v_ashrrev_i32_e32 v5, 31, v4
	v_lshl_add_u64 v[2:3], v[4:5], 2, v[2:3]
	global_load_dword v5, v[2:3], off
	s_mul_i32 s5, s10, s2
	s_lshl_b32 s11, s3, 4
	s_add_i32 s9, s5, s10
	s_add_i32 s0, s11, s4
	s_lshl_b32 s1, s9, 5
	s_add_i32 s0, s0, s1
	s_sub_i32 s0, s0, 32
	s_ashr_i32 s1, s0, 31
	s_lshl_b64 s[0:1], s[0:1], 3
	s_add_u32 s0, s14, s0
	s_addc_u32 s1, s15, s1
	s_load_dword s12, s[0:1], 0x4
	s_add_i32 s6, s9, -2
	s_cmp_lt_i32 s6, s5
	s_cbranch_scc1 .LBB6_4
; %bb.2:
	s_lshl_b32 s6, s8, 7
	s_ashr_i32 s7, s6, 31
	s_lshl_b64 s[6:7], s[6:7], 2
	s_add_u32 s6, s14, s6
	s_addc_u32 s7, s15, s7
	s_add_i32 s2, s2, 1
	s_load_dword s0, s[0:1], 0x0
	s_mul_i32 s1, s10, s2
	s_lshl_b32 s3, s3, 11
	s_lshl_b32 s10, s4, 7
	;; [unrolled: 1-line block ×3, first 2 shown]
	s_add_i32 s3, s10, s3
	s_lshl_b32 s1, s1, 5
	s_add_i32 s3, s3, s2
	s_add_i32 s1, s4, s1
	s_lshl_b32 s2, s8, 5
	s_add_i32 s1, s1, s2
	v_or_b32_e32 v0, s3, v0
	s_add_i32 s1, s1, s11
	s_add_i32 s9, s9, -1
	v_add_u32_e32 v0, 0xffffe000, v0
	s_sub_i32 s2, s1, 64
	s_waitcnt lgkmcnt(0)
	v_mov_b32_e32 v7, s0
	v_mov_b32_e32 v4, s12
	s_mov_b32 s4, 0x3fb8aa3b
	s_mov_b32 s8, 0xc2ce8ed0
	;; [unrolled: 1-line block ×3, first 2 shown]
	v_mov_b32_e32 v6, 0x7f800000
	s_mov_b32 s11, 0xc1a00000
.LBB6_3:                                ; =>This Inner Loop Header: Depth=1
	v_ashrrev_i32_e32 v1, 31, v0
	v_lshl_add_u64 v[8:9], v[0:1], 2, s[6:7]
	global_load_dword v9, v[8:9], off
	s_ashr_i32 s3, s2, 31
	s_lshl_b64 s[0:1], s[2:3], 3
	s_add_u32 s0, s14, s0
	s_addc_u32 s1, s15, s1
	s_load_dwordx2 s[0:1], s[0:1], 0x0
	v_max_f32_e32 v1, v7, v7
	s_add_i32 s9, s9, -1
	s_sub_i32 s2, s2, 32
	v_add_u32_e32 v0, 0xfffff000, v0
	s_waitcnt lgkmcnt(0)
	v_max_f32_e64 v10, s0, s0
	v_max_f32_e32 v1, v1, v10
	v_sub_f32_e32 v11, s0, v1
	v_sub_f32_e32 v10, v7, v1
	v_mul_f32_e32 v12, 0x3fb8aa3b, v11
	v_mov_b32_e32 v7, v1
	v_mul_f32_e32 v1, 0x3fb8aa3b, v10
	v_fma_f32 v15, v11, s4, -v12
	v_rndne_f32_e32 v16, v12
	v_fma_f32 v13, v10, s4, -v1
	v_rndne_f32_e32 v14, v1
	v_fmac_f32_e32 v15, 0x32a5705f, v11
	v_sub_f32_e32 v12, v12, v16
	v_fmac_f32_e32 v13, 0x32a5705f, v10
	v_sub_f32_e32 v1, v1, v14
	v_add_f32_e32 v12, v12, v15
	v_cvt_i32_f32_e32 v16, v16
	v_add_f32_e32 v1, v1, v13
	v_exp_f32_e32 v12, v12
	v_cvt_i32_f32_e32 v14, v14
	v_exp_f32_e32 v1, v1
	v_cmp_ngt_f32_e32 vcc, s8, v11
	v_ldexp_f32 v12, v12, v16
	v_mov_b32_e32 v8, s1
	v_ldexp_f32 v1, v1, v14
	v_cmp_ngt_f32_e64 s[0:1], s8, v10
	v_cndmask_b32_e32 v12, 0, v12, vcc
	v_cmp_nlt_f32_e32 vcc, s10, v11
	v_cndmask_b32_e64 v1, 0, v1, s[0:1]
	v_cmp_nlt_f32_e64 s[0:1], s10, v10
	v_cndmask_b32_e32 v12, v6, v12, vcc
	v_cmp_le_f32_e32 vcc, s11, v11
	v_cndmask_b32_e64 v1, v6, v1, s[0:1]
	v_cmp_le_f32_e64 s[0:1], s11, v10
	v_cndmask_b32_e32 v12, 0, v12, vcc
	s_cmp_le_i32 s9, s5
	v_cndmask_b32_e64 v10, 0, v1, s[0:1]
	s_waitcnt vmcnt(0)
	v_pk_mul_f32 v[8:9], v[8:9], v[12:13] op_sel_hi:[1,0]
	s_nop 0
	v_pk_fma_f32 v[4:5], v[4:5], v[10:11], v[8:9] op_sel_hi:[1,0,1]
	s_cbranch_scc0 .LBB6_3
	s_branch .LBB6_5
.LBB6_4:
	s_waitcnt lgkmcnt(0)
	v_mov_b32_e32 v4, s12
.LBB6_5:
	s_waitcnt vmcnt(0)
	v_div_scale_f32 v0, s[0:1], v4, v4, v5
	v_rcp_f32_e32 v1, v0
	v_div_scale_f32 v6, vcc, v5, v4, v5
	v_fma_f32 v7, -v0, v1, 1.0
	v_fmac_f32_e32 v1, v7, v1
	v_mul_f32_e32 v7, v6, v1
	v_fma_f32 v8, -v0, v7, v6
	v_fmac_f32_e32 v7, v8, v1
	v_fma_f32 v0, -v0, v7, v6
	v_div_fmas_f32 v0, v0, v1, v7
	v_div_fixup_f32 v0, v0, v4, v5
	global_store_dword v[2:3], v0, off
.LBB6_6:
	s_endpgm
	.section	.rodata,"a",@progbits
	.p2align	6, 0x0
	.amdhsa_kernel _ZL33flash_attn_stream_k_fixup_uniformILi128ELi2ELi16EEvPfPK15HIP_vector_typeIfLj2EEiiiiiiS1_IjLj3EES5_S5_
		.amdhsa_group_segment_fixed_size 0
		.amdhsa_private_segment_fixed_size 0
		.amdhsa_kernarg_size 76
		.amdhsa_user_sgpr_count 2
		.amdhsa_user_sgpr_dispatch_ptr 0
		.amdhsa_user_sgpr_queue_ptr 0
		.amdhsa_user_sgpr_kernarg_segment_ptr 1
		.amdhsa_user_sgpr_dispatch_id 0
		.amdhsa_user_sgpr_kernarg_preload_length 0
		.amdhsa_user_sgpr_kernarg_preload_offset 0
		.amdhsa_user_sgpr_private_segment_size 0
		.amdhsa_uses_dynamic_stack 0
		.amdhsa_enable_private_segment 0
		.amdhsa_system_sgpr_workgroup_id_x 1
		.amdhsa_system_sgpr_workgroup_id_y 1
		.amdhsa_system_sgpr_workgroup_id_z 1
		.amdhsa_system_sgpr_workgroup_info 0
		.amdhsa_system_vgpr_workitem_id 0
		.amdhsa_next_free_vgpr 17
		.amdhsa_next_free_sgpr 24
		.amdhsa_accum_offset 20
		.amdhsa_reserve_vcc 1
		.amdhsa_float_round_mode_32 0
		.amdhsa_float_round_mode_16_64 0
		.amdhsa_float_denorm_mode_32 3
		.amdhsa_float_denorm_mode_16_64 3
		.amdhsa_dx10_clamp 1
		.amdhsa_ieee_mode 1
		.amdhsa_fp16_overflow 0
		.amdhsa_tg_split 0
		.amdhsa_exception_fp_ieee_invalid_op 0
		.amdhsa_exception_fp_denorm_src 0
		.amdhsa_exception_fp_ieee_div_zero 0
		.amdhsa_exception_fp_ieee_overflow 0
		.amdhsa_exception_fp_ieee_underflow 0
		.amdhsa_exception_fp_ieee_inexact 0
		.amdhsa_exception_int_div_zero 0
	.end_amdhsa_kernel
	.section	.text._ZL33flash_attn_stream_k_fixup_uniformILi128ELi2ELi16EEvPfPK15HIP_vector_typeIfLj2EEiiiiiiS1_IjLj3EES5_S5_,"axG",@progbits,_ZL33flash_attn_stream_k_fixup_uniformILi128ELi2ELi16EEvPfPK15HIP_vector_typeIfLj2EEiiiiiiS1_IjLj3EES5_S5_,comdat
.Lfunc_end6:
	.size	_ZL33flash_attn_stream_k_fixup_uniformILi128ELi2ELi16EEvPfPK15HIP_vector_typeIfLj2EEiiiiiiS1_IjLj3EES5_S5_, .Lfunc_end6-_ZL33flash_attn_stream_k_fixup_uniformILi128ELi2ELi16EEvPfPK15HIP_vector_typeIfLj2EEiiiiiiS1_IjLj3EES5_S5_
                                        ; -- End function
	.set _ZL33flash_attn_stream_k_fixup_uniformILi128ELi2ELi16EEvPfPK15HIP_vector_typeIfLj2EEiiiiiiS1_IjLj3EES5_S5_.num_vgpr, 17
	.set _ZL33flash_attn_stream_k_fixup_uniformILi128ELi2ELi16EEvPfPK15HIP_vector_typeIfLj2EEiiiiiiS1_IjLj3EES5_S5_.num_agpr, 0
	.set _ZL33flash_attn_stream_k_fixup_uniformILi128ELi2ELi16EEvPfPK15HIP_vector_typeIfLj2EEiiiiiiS1_IjLj3EES5_S5_.numbered_sgpr, 24
	.set _ZL33flash_attn_stream_k_fixup_uniformILi128ELi2ELi16EEvPfPK15HIP_vector_typeIfLj2EEiiiiiiS1_IjLj3EES5_S5_.num_named_barrier, 0
	.set _ZL33flash_attn_stream_k_fixup_uniformILi128ELi2ELi16EEvPfPK15HIP_vector_typeIfLj2EEiiiiiiS1_IjLj3EES5_S5_.private_seg_size, 0
	.set _ZL33flash_attn_stream_k_fixup_uniformILi128ELi2ELi16EEvPfPK15HIP_vector_typeIfLj2EEiiiiiiS1_IjLj3EES5_S5_.uses_vcc, 1
	.set _ZL33flash_attn_stream_k_fixup_uniformILi128ELi2ELi16EEvPfPK15HIP_vector_typeIfLj2EEiiiiiiS1_IjLj3EES5_S5_.uses_flat_scratch, 0
	.set _ZL33flash_attn_stream_k_fixup_uniformILi128ELi2ELi16EEvPfPK15HIP_vector_typeIfLj2EEiiiiiiS1_IjLj3EES5_S5_.has_dyn_sized_stack, 0
	.set _ZL33flash_attn_stream_k_fixup_uniformILi128ELi2ELi16EEvPfPK15HIP_vector_typeIfLj2EEiiiiiiS1_IjLj3EES5_S5_.has_recursion, 0
	.set _ZL33flash_attn_stream_k_fixup_uniformILi128ELi2ELi16EEvPfPK15HIP_vector_typeIfLj2EEiiiiiiS1_IjLj3EES5_S5_.has_indirect_call, 0
	.section	.AMDGPU.csdata,"",@progbits
; Kernel info:
; codeLenInByte = 836
; TotalNumSgprs: 30
; NumVgprs: 17
; NumAgprs: 0
; TotalNumVgprs: 17
; ScratchSize: 0
; MemoryBound: 0
; FloatMode: 240
; IeeeMode: 1
; LDSByteSize: 0 bytes/workgroup (compile time only)
; SGPRBlocks: 3
; VGPRBlocks: 2
; NumSGPRsForWavesPerEU: 30
; NumVGPRsForWavesPerEU: 17
; AccumOffset: 20
; Occupancy: 8
; WaveLimiterHint : 0
; COMPUTE_PGM_RSRC2:SCRATCH_EN: 0
; COMPUTE_PGM_RSRC2:USER_SGPR: 2
; COMPUTE_PGM_RSRC2:TRAP_HANDLER: 0
; COMPUTE_PGM_RSRC2:TGID_X_EN: 1
; COMPUTE_PGM_RSRC2:TGID_Y_EN: 1
; COMPUTE_PGM_RSRC2:TGID_Z_EN: 1
; COMPUTE_PGM_RSRC2:TIDIG_COMP_CNT: 0
; COMPUTE_PGM_RSRC3_GFX90A:ACCUM_OFFSET: 4
; COMPUTE_PGM_RSRC3_GFX90A:TG_SPLIT: 0
	.section	.text._ZL33flash_attn_stream_k_fixup_generalILi128ELi2ELi16EEvPfPK15HIP_vector_typeIfLj2EEiiiiS1_IjLj3EES5_S5_S5_,"axG",@progbits,_ZL33flash_attn_stream_k_fixup_generalILi128ELi2ELi16EEvPfPK15HIP_vector_typeIfLj2EEiiiiS1_IjLj3EES5_S5_S5_,comdat
	.globl	_ZL33flash_attn_stream_k_fixup_generalILi128ELi2ELi16EEvPfPK15HIP_vector_typeIfLj2EEiiiiS1_IjLj3EES5_S5_S5_ ; -- Begin function _ZL33flash_attn_stream_k_fixup_generalILi128ELi2ELi16EEvPfPK15HIP_vector_typeIfLj2EEiiiiS1_IjLj3EES5_S5_S5_
	.p2align	8
	.type	_ZL33flash_attn_stream_k_fixup_generalILi128ELi2ELi16EEvPfPK15HIP_vector_typeIfLj2EEiiiiS1_IjLj3EES5_S5_S5_,@function
_ZL33flash_attn_stream_k_fixup_generalILi128ELi2ELi16EEvPfPK15HIP_vector_typeIfLj2EEiiiiS1_IjLj3EES5_S5_S5_: ; @_ZL33flash_attn_stream_k_fixup_generalILi128ELi2ELi16EEvPfPK15HIP_vector_typeIfLj2EEiiiiS1_IjLj3EES5_S5_S5_
; %bb.0:
	s_load_dwordx4 s[8:11], s[0:1], 0x10
	s_load_dword s22, s[0:1], 0x50
	s_mov_b32 s12, 0
	s_waitcnt lgkmcnt(0)
	s_mul_hi_i32 s13, s11, s2
	s_cmp_lg_u64 s[12:13], 0
	s_mul_i32 s5, s11, s2
	s_cbranch_scc0 .LBB7_20
; %bb.1:
	s_add_u32 s6, s22, 0
	s_addc_u32 s7, 0, 0
	s_xor_b64 s[6:7], s[6:7], 0
	v_cvt_f32_u32_e32 v1, s6
	v_cvt_f32_u32_e32 v2, s7
	s_sub_u32 s12, 0, s6
	s_subb_u32 s18, 0, s7
	v_fmamk_f32 v1, v2, 0x4f800000, v1
	v_rcp_f32_e32 v1, v1
	s_nop 0
	v_mul_f32_e32 v1, 0x5f7ffffc, v1
	v_mul_f32_e32 v2, 0x2f800000, v1
	v_trunc_f32_e32 v2, v2
	v_fmamk_f32 v1, v2, 0xcf800000, v1
	v_cvt_u32_f32_e32 v2, v2
	v_cvt_u32_f32_e32 v1, v1
	v_readfirstlane_b32 s19, v2
	v_readfirstlane_b32 s14, v1
	s_mul_i32 s15, s12, s19
	s_mul_hi_u32 s21, s12, s14
	s_mul_i32 s20, s18, s14
	s_add_i32 s15, s21, s15
	s_add_i32 s15, s15, s20
	s_mul_i32 s23, s12, s14
	s_mul_i32 s21, s14, s15
	s_mul_hi_u32 s24, s14, s23
	s_mul_hi_u32 s20, s14, s15
	s_add_u32 s21, s24, s21
	s_addc_u32 s20, 0, s20
	s_mul_hi_u32 s25, s19, s23
	s_mul_i32 s23, s19, s23
	s_add_u32 s21, s21, s23
	s_mul_hi_u32 s24, s19, s15
	s_addc_u32 s20, s20, s25
	s_addc_u32 s21, s24, 0
	s_mul_i32 s15, s19, s15
	s_add_u32 s15, s20, s15
	s_addc_u32 s20, 0, s21
	s_add_u32 s21, s14, s15
	s_cselect_b64 s[14:15], -1, 0
	s_cmp_lg_u64 s[14:15], 0
	s_addc_u32 s19, s19, s20
	s_mul_i32 s14, s12, s19
	s_mul_hi_u32 s15, s12, s21
	s_add_i32 s14, s15, s14
	s_mul_i32 s18, s18, s21
	s_add_i32 s14, s14, s18
	s_mul_i32 s12, s12, s21
	s_mul_hi_u32 s18, s19, s12
	s_mul_i32 s20, s19, s12
	s_mul_i32 s24, s21, s14
	s_mul_hi_u32 s12, s21, s12
	s_mul_hi_u32 s23, s21, s14
	s_add_u32 s12, s12, s24
	s_addc_u32 s23, 0, s23
	s_add_u32 s12, s12, s20
	s_mul_hi_u32 s15, s19, s14
	s_addc_u32 s12, s23, s18
	s_addc_u32 s15, s15, 0
	s_mul_i32 s14, s19, s14
	s_add_u32 s12, s12, s14
	s_addc_u32 s18, 0, s15
	s_add_u32 s20, s21, s12
	s_cselect_b64 s[14:15], -1, 0
	s_cmp_lg_u64 s[14:15], 0
	s_addc_u32 s18, s19, s18
	s_ashr_i32 s14, s13, 31
	s_add_u32 s12, s5, s14
	s_mov_b32 s15, s14
	s_addc_u32 s13, s13, s14
	s_xor_b64 s[12:13], s[12:13], s[14:15]
	s_mul_i32 s21, s12, s18
	s_mul_hi_u32 s23, s12, s20
	s_mul_hi_u32 s19, s12, s18
	s_add_u32 s21, s23, s21
	s_addc_u32 s19, 0, s19
	s_mul_hi_u32 s24, s13, s20
	s_mul_i32 s20, s13, s20
	s_add_u32 s20, s21, s20
	s_mul_hi_u32 s23, s13, s18
	s_addc_u32 s19, s19, s24
	s_addc_u32 s20, s23, 0
	s_mul_i32 s18, s13, s18
	s_add_u32 s23, s19, s18
	s_addc_u32 s24, 0, s20
	s_mul_i32 s18, s6, s24
	s_mul_hi_u32 s19, s6, s23
	s_add_i32 s18, s19, s18
	s_mul_i32 s19, s7, s23
	s_add_i32 s25, s18, s19
	s_sub_i32 s20, s13, s25
	s_mul_i32 s18, s6, s23
	s_sub_u32 s12, s12, s18
	s_cselect_b64 s[18:19], -1, 0
	s_cmp_lg_u64 s[18:19], 0
	s_subb_u32 s26, s20, s7
	s_sub_u32 s27, s12, s6
	s_cselect_b64 s[20:21], -1, 0
	s_cmp_lg_u64 s[20:21], 0
	s_subb_u32 s20, s26, 0
	s_cmp_ge_u32 s20, s7
	s_cselect_b32 s21, -1, 0
	s_cmp_ge_u32 s27, s6
	s_cselect_b32 s26, -1, 0
	s_cmp_eq_u32 s20, s7
	s_cselect_b32 s20, s26, s21
	s_add_u32 s21, s23, 1
	s_addc_u32 s26, s24, 0
	s_add_u32 s27, s23, 2
	s_addc_u32 s28, s24, 0
	s_cmp_lg_u32 s20, 0
	s_cselect_b32 s20, s27, s21
	s_cselect_b32 s21, s28, s26
	s_cmp_lg_u64 s[18:19], 0
	s_subb_u32 s13, s13, s25
	s_cmp_ge_u32 s13, s7
	s_cselect_b32 s18, -1, 0
	s_cmp_ge_u32 s12, s6
	s_cselect_b32 s6, -1, 0
	s_cmp_eq_u32 s13, s7
	s_cselect_b32 s6, s6, s18
	s_cmp_lg_u32 s6, 0
	s_cselect_b32 s7, s21, s24
	s_cselect_b32 s6, s20, s23
	s_xor_b64 s[12:13], s[14:15], 0
	s_xor_b64 s[6:7], s[6:7], s[12:13]
	s_sub_u32 s6, s6, s12
	s_load_dwordx4 s[12:15], s[0:1], 0x44
	s_cbranch_execnz .LBB7_3
.LBB7_2:
	v_cvt_f32_u32_e32 v1, s22
	s_sub_i32 s6, 0, s22
	v_rcp_iflag_f32_e32 v1, v1
	s_nop 0
	v_mul_f32_e32 v1, 0x4f7ffffe, v1
	v_cvt_u32_f32_e32 v1, v1
	s_nop 0
	v_readfirstlane_b32 s7, v1
	s_mul_i32 s6, s6, s7
	s_mul_hi_u32 s6, s7, s6
	s_add_i32 s7, s7, s6
	s_mul_hi_u32 s6, s5, s7
	s_waitcnt lgkmcnt(0)
	s_mul_i32 s15, s6, s22
	s_sub_i32 s5, s5, s15
	s_add_i32 s7, s6, 1
	s_sub_i32 s15, s5, s22
	s_cmp_ge_u32 s5, s22
	s_cselect_b32 s6, s7, s6
	s_cselect_b32 s5, s15, s5
	s_add_i32 s7, s6, 1
	s_cmp_ge_u32 s5, s22
	s_cselect_b32 s6, s7, s6
.LBB7_3:
	s_add_i32 s5, s2, 1
	s_mul_hi_i32 s21, s11, s5
	s_mov_b32 s20, 0
	s_cmp_lg_u64 s[20:21], 0
	s_mul_i32 s5, s11, s5
	s_cbranch_scc0 .LBB7_21
; %bb.4:
	s_add_u32 s16, s22, 0
	s_addc_u32 s17, 0, 0
	s_xor_b64 s[18:19], s[16:17], 0
	v_cvt_f32_u32_e32 v1, s18
	v_cvt_f32_u32_e32 v2, s19
	s_sub_u32 s7, 0, s18
	s_waitcnt lgkmcnt(0)
	s_subb_u32 s15, 0, s19
	v_fmamk_f32 v1, v2, 0x4f800000, v1
	v_rcp_f32_e32 v1, v1
	s_nop 0
	v_mul_f32_e32 v1, 0x5f7ffffc, v1
	v_mul_f32_e32 v2, 0x2f800000, v1
	v_trunc_f32_e32 v2, v2
	v_fmamk_f32 v1, v2, 0xcf800000, v1
	v_cvt_u32_f32_e32 v2, v2
	v_cvt_u32_f32_e32 v1, v1
	v_readfirstlane_b32 s20, v2
	v_readfirstlane_b32 s23, v1
	s_mul_i32 s24, s7, s20
	s_mul_hi_u32 s26, s7, s23
	s_mul_i32 s25, s15, s23
	s_add_i32 s24, s26, s24
	s_add_i32 s24, s24, s25
	s_mul_i32 s27, s7, s23
	s_mul_i32 s26, s23, s24
	s_mul_hi_u32 s28, s23, s27
	s_mul_hi_u32 s25, s23, s24
	s_add_u32 s26, s28, s26
	s_addc_u32 s25, 0, s25
	s_mul_hi_u32 s29, s20, s27
	s_mul_i32 s27, s20, s27
	s_add_u32 s26, s26, s27
	s_mul_hi_u32 s28, s20, s24
	s_addc_u32 s25, s25, s29
	s_addc_u32 s26, s28, 0
	s_mul_i32 s24, s20, s24
	s_add_u32 s24, s25, s24
	s_addc_u32 s26, 0, s26
	s_add_u32 s23, s23, s24
	s_cselect_b64 s[24:25], -1, 0
	s_cmp_lg_u64 s[24:25], 0
	s_addc_u32 s20, s20, s26
	s_mul_i32 s24, s7, s20
	s_mul_hi_u32 s25, s7, s23
	s_add_i32 s24, s25, s24
	s_mul_i32 s15, s15, s23
	s_add_i32 s24, s24, s15
	s_mul_i32 s7, s7, s23
	s_mul_hi_u32 s25, s20, s7
	s_mul_i32 s26, s20, s7
	s_mul_i32 s28, s23, s24
	s_mul_hi_u32 s7, s23, s7
	s_mul_hi_u32 s27, s23, s24
	s_add_u32 s7, s7, s28
	s_addc_u32 s27, 0, s27
	s_add_u32 s7, s7, s26
	s_mul_hi_u32 s15, s20, s24
	s_addc_u32 s7, s27, s25
	s_addc_u32 s15, s15, 0
	s_mul_i32 s24, s20, s24
	s_add_u32 s7, s7, s24
	s_addc_u32 s15, 0, s15
	s_add_u32 s7, s23, s7
	s_cselect_b64 s[24:25], -1, 0
	s_cmp_lg_u64 s[24:25], 0
	s_addc_u32 s15, s20, s15
	s_ashr_i32 s24, s21, 31
	s_add_u32 s20, s5, s24
	s_mov_b32 s25, s24
	s_addc_u32 s21, s21, s24
	s_xor_b64 s[20:21], s[20:21], s[24:25]
	s_mul_i32 s26, s20, s15
	s_mul_hi_u32 s27, s20, s7
	s_mul_hi_u32 s23, s20, s15
	s_add_u32 s26, s27, s26
	s_addc_u32 s23, 0, s23
	s_mul_hi_u32 s28, s21, s7
	s_mul_i32 s7, s21, s7
	s_add_u32 s7, s26, s7
	s_mul_hi_u32 s27, s21, s15
	s_addc_u32 s7, s23, s28
	s_addc_u32 s23, s27, 0
	s_mul_i32 s15, s21, s15
	s_add_u32 s7, s7, s15
	s_addc_u32 s15, 0, s23
	s_mul_i32 s23, s18, s15
	s_mul_hi_u32 s26, s18, s7
	s_add_i32 s23, s26, s23
	s_mul_i32 s26, s19, s7
	s_add_i32 s23, s23, s26
	s_sub_i32 s28, s21, s23
	s_mul_i32 s26, s18, s7
	s_sub_u32 s20, s20, s26
	s_cselect_b64 s[26:27], -1, 0
	s_cmp_lg_u64 s[26:27], 0
	s_subb_u32 s30, s28, s19
	s_sub_u32 s31, s20, s18
	s_cselect_b64 s[28:29], -1, 0
	s_cmp_lg_u64 s[28:29], 0
	s_subb_u32 s28, s30, 0
	s_cmp_ge_u32 s28, s19
	s_cselect_b32 s29, -1, 0
	s_cmp_ge_u32 s31, s18
	s_cselect_b32 s30, -1, 0
	s_cmp_eq_u32 s28, s19
	s_cselect_b32 s28, s30, s29
	s_add_u32 s29, s7, 1
	s_addc_u32 s30, s15, 0
	s_add_u32 s31, s7, 2
	s_addc_u32 s33, s15, 0
	s_cmp_lg_u32 s28, 0
	s_cselect_b32 s28, s31, s29
	s_cselect_b32 s29, s33, s30
	s_cmp_lg_u64 s[26:27], 0
	s_subb_u32 s21, s21, s23
	s_cmp_ge_u32 s21, s19
	s_cselect_b32 s23, -1, 0
	s_cmp_ge_u32 s20, s18
	s_cselect_b32 s18, -1, 0
	s_cmp_eq_u32 s21, s19
	s_cselect_b32 s18, s18, s23
	s_cmp_lg_u32 s18, 0
	s_cselect_b32 s19, s29, s15
	s_cselect_b32 s18, s28, s7
	s_xor_b64 s[20:21], s[24:25], 0
	s_xor_b64 s[18:19], s[18:19], s[20:21]
	s_sub_u32 s18, s18, s20
	s_cbranch_execnz .LBB7_6
.LBB7_5:
	v_cvt_f32_u32_e32 v1, s22
	s_sub_i32 s7, 0, s22
	v_rcp_iflag_f32_e32 v1, v1
	s_nop 0
	v_mul_f32_e32 v1, 0x4f7ffffe, v1
	v_cvt_u32_f32_e32 v1, v1
	s_waitcnt lgkmcnt(0)
	v_readfirstlane_b32 s15, v1
	s_mul_i32 s7, s7, s15
	s_mul_hi_u32 s7, s15, s7
	s_add_i32 s15, s15, s7
	s_mul_hi_u32 s7, s5, s15
	s_mul_i32 s16, s7, s22
	s_sub_i32 s5, s5, s16
	s_add_i32 s15, s7, 1
	s_sub_i32 s16, s5, s22
	s_cmp_ge_u32 s5, s22
	s_cselect_b32 s7, s15, s7
	s_cselect_b32 s5, s16, s5
	s_add_i32 s15, s7, 1
	s_cmp_ge_u32 s5, s22
	s_cselect_b32 s18, s15, s7
.LBB7_6:
	s_cmp_eq_u32 s6, s18
	s_waitcnt lgkmcnt(0)
	s_mul_hi_u32 s5, s6, s12
	s_cselect_b64 s[16:17], -1, 0
	s_add_i32 s5, s5, s6
	s_lshr_b32 s7, s5, s13
	s_mul_i32 s5, s7, s14
	s_cmp_eq_u32 s5, s6
	s_mul_hi_u32 s5, s18, s12
	s_cselect_b64 s[20:21], -1, 0
	s_add_i32 s5, s5, s18
	s_lshr_b32 s5, s5, s13
	s_cmp_eq_u32 s7, s5
	s_mul_i32 s5, s5, s14
	s_cselect_b64 s[24:25], -1, 0
	s_cmp_lg_u32 s5, s18
	s_cselect_b64 s[18:19], -1, 0
	s_and_b64 s[18:19], s[24:25], s[18:19]
	s_or_b64 s[16:17], s[16:17], s[20:21]
	s_or_b64 s[16:17], s[16:17], s[18:19]
	s_and_b64 vcc, exec, s[16:17]
	s_cbranch_vccnz .LBB7_23
; %bb.7:
	s_load_dwordx8 s[24:31], s[0:1], 0x20
	s_load_dword s15, s[0:1], 0x40
	s_waitcnt lgkmcnt(0)
	s_mul_hi_u32 s5, s6, s24
	s_add_i32 s5, s5, s6
	s_lshr_b32 s5, s5, s25
	s_mul_i32 s16, s5, s26
	s_sub_i32 s16, s6, s16
	s_mul_hi_u32 s17, s16, s27
	s_add_i32 s17, s16, s17
	s_lshr_b32 s20, s17, s28
	s_mul_i32 s17, s20, s29
	s_sub_i32 s16, s16, s17
	;; [unrolled: 5-line block ×3, first 2 shown]
	s_mul_hi_u32 s16, s15, s12
	s_add_i32 s15, s15, s16
	s_lshr_b32 s23, s15, s13
	s_lshl_b32 s15, s23, 1
	s_lshl_b32 s21, s17, 4
	s_add_i32 s15, s15, s3
	s_cmp_lt_i32 s15, s8
	s_cselect_b64 s[16:17], -1, 0
	s_add_i32 s15, s21, s4
	s_cmp_lt_i32 s15, s10
	s_cselect_b64 s[18:19], -1, 0
	s_and_b64 s[16:17], s[16:17], s[18:19]
	s_andn2_b64 vcc, exec, s[16:17]
	s_cbranch_vccnz .LBB7_23
; %bb.8:
	s_load_dwordx4 s[16:19], s[0:1], 0x0
	s_mov_b32 s0, 0
	s_lshl_b32 s15, s3, 4
	s_lshl_b32 s24, s22, 7
	s_mov_b32 s25, s0
	s_add_i32 s15, s15, s4
	s_waitcnt lgkmcnt(0)
	v_mov_b32_e32 v2, s16
	v_mov_b32_e32 v3, s17
	s_lshl_b64 s[16:17], s[24:25], 2
	s_add_u32 s16, s18, s16
	s_mul_i32 s1, s5, s8
	s_addc_u32 s17, s19, s17
	s_add_i32 s1, s1, s3
	s_mul_i32 s1, s1, s9
	s_mul_i32 s20, s20, s10
	s_add_i32 s1, s1, s4
	s_add_i32 s1, s1, s20
	s_mul_i32 s5, s9, s23
	s_add_i32 s1, s1, s21
	s_lshl_b32 s5, s5, 8
	s_lshl_b32 s1, s1, 7
	s_add_i32 s5, s5, s1
	v_or_b32_e32 v4, s5, v0
	v_ashrrev_i32_e32 v5, 31, v4
	v_lshl_add_u64 v[2:3], v[4:5], 2, v[2:3]
	global_load_dword v1, v[2:3], off
	v_cvt_f32_u32_e32 v4, s22
	s_lshl_b32 s1, s2, 5
	s_add_i32 s4, s15, s1
	s_ashr_i32 s5, s4, 31
	s_lshl_b64 s[4:5], s[4:5], 3
	v_rcp_iflag_f32_e32 v4, v4
	s_add_u32 s4, s18, s4
	s_addc_u32 s5, s19, s5
	s_load_dwordx2 s[4:5], s[4:5], 0x0
	v_mul_f32_e32 v4, 0x4f7ffffe, v4
	v_cvt_u32_f32_e32 v7, v4
	s_add_i32 s24, s2, -1
	v_lshl_or_b32 v6, s15, 7, v0
	s_waitcnt lgkmcnt(0)
	v_mov_b32_e32 v0, s5
	v_mov_b32_e32 v9, s4
	s_mov_b32 s10, 0x3fb8aa3b
	s_mov_b32 s20, 0xc2ce8ed0
	;; [unrolled: 1-line block ×4, first 2 shown]
	v_mov_b32_e32 v8, 0x7f800000
	s_mul_hi_i32 s1, s24, s11
	s_cmp_lg_u64 s[0:1], 0
	s_mul_i32 s8, s24, s11
	s_cbranch_scc0 .LBB7_19
.LBB7_9:
	s_add_u32 s2, s22, 0
	s_addc_u32 s3, 0, 0
	s_xor_b64 s[2:3], s[2:3], 0
	v_cvt_f32_u32_e32 v4, s2
	v_cvt_f32_u32_e32 v5, s3
	s_sub_u32 s9, 0, s2
	s_subb_u32 s25, 0, s3
	v_fmac_f32_e32 v4, 0x4f800000, v5
	v_rcp_f32_e32 v4, v4
	s_nop 0
	v_mul_f32_e32 v4, 0x5f7ffffc, v4
	v_mul_f32_e32 v5, 0x2f800000, v4
	v_trunc_f32_e32 v5, v5
	v_fmac_f32_e32 v4, 0xcf800000, v5
	v_cvt_u32_f32_e32 v5, v5
	v_cvt_u32_f32_e32 v4, v4
	v_readfirstlane_b32 s26, v5
	v_readfirstlane_b32 s4, v4
	s_mul_i32 s5, s9, s26
	s_mul_hi_u32 s28, s9, s4
	s_mul_i32 s27, s25, s4
	s_add_i32 s5, s28, s5
	s_mul_i32 s29, s9, s4
	s_add_i32 s5, s5, s27
	s_mul_i32 s28, s4, s5
	s_mul_hi_u32 s30, s4, s29
	s_mul_hi_u32 s27, s4, s5
	s_add_u32 s28, s30, s28
	s_addc_u32 s27, 0, s27
	s_mul_hi_u32 s31, s26, s29
	s_mul_i32 s29, s26, s29
	s_add_u32 s28, s28, s29
	s_mul_hi_u32 s30, s26, s5
	s_addc_u32 s27, s27, s31
	s_addc_u32 s28, s30, 0
	s_mul_i32 s5, s26, s5
	s_add_u32 s5, s27, s5
	s_addc_u32 s27, 0, s28
	s_add_u32 s28, s4, s5
	s_cselect_b64 s[4:5], -1, 0
	s_cmp_lg_u64 s[4:5], 0
	s_addc_u32 s26, s26, s27
	s_mul_i32 s4, s9, s26
	s_mul_hi_u32 s5, s9, s28
	s_add_i32 s4, s5, s4
	s_mul_i32 s25, s25, s28
	s_add_i32 s4, s4, s25
	s_mul_i32 s9, s9, s28
	s_mul_hi_u32 s25, s26, s9
	s_mul_i32 s27, s26, s9
	s_mul_i32 s30, s28, s4
	s_mul_hi_u32 s9, s28, s9
	s_mul_hi_u32 s29, s28, s4
	s_add_u32 s9, s9, s30
	s_addc_u32 s29, 0, s29
	s_add_u32 s9, s9, s27
	s_mul_hi_u32 s5, s26, s4
	s_addc_u32 s9, s29, s25
	s_addc_u32 s5, s5, 0
	s_mul_i32 s4, s26, s4
	s_add_u32 s4, s9, s4
	s_addc_u32 s9, 0, s5
	s_add_u32 s25, s28, s4
	s_cselect_b64 s[4:5], -1, 0
	s_cmp_lg_u64 s[4:5], 0
	s_addc_u32 s9, s26, s9
	s_ashr_i32 s4, s1, 31
	s_add_u32 s26, s8, s4
	s_mov_b32 s5, s4
	s_addc_u32 s27, s1, s4
	s_xor_b64 s[26:27], s[26:27], s[4:5]
	s_mul_i32 s28, s26, s9
	s_mul_hi_u32 s29, s26, s25
	s_mul_hi_u32 s1, s26, s9
	s_add_u32 s28, s29, s28
	s_addc_u32 s1, 0, s1
	s_mul_hi_u32 s30, s27, s25
	s_mul_i32 s25, s27, s25
	s_add_u32 s25, s28, s25
	s_mul_hi_u32 s29, s27, s9
	s_addc_u32 s1, s1, s30
	s_addc_u32 s25, s29, 0
	s_mul_i32 s9, s27, s9
	s_add_u32 s1, s1, s9
	s_addc_u32 s9, 0, s25
	s_mul_i32 s25, s2, s9
	s_mul_hi_u32 s28, s2, s1
	s_add_i32 s25, s28, s25
	s_mul_i32 s28, s3, s1
	s_add_i32 s25, s25, s28
	s_sub_i32 s30, s27, s25
	s_mul_i32 s28, s2, s1
	s_sub_u32 s26, s26, s28
	s_cselect_b64 s[28:29], -1, 0
	s_cmp_lg_u64 s[28:29], 0
	s_subb_u32 s33, s30, s3
	s_sub_u32 s34, s26, s2
	s_cselect_b64 s[30:31], -1, 0
	s_cmp_lg_u64 s[30:31], 0
	s_subb_u32 s30, s33, 0
	s_cmp_ge_u32 s30, s3
	s_cselect_b32 s31, -1, 0
	s_cmp_ge_u32 s34, s2
	s_cselect_b32 s33, -1, 0
	s_cmp_eq_u32 s30, s3
	s_cselect_b32 s30, s33, s31
	s_add_u32 s31, s1, 1
	s_addc_u32 s33, s9, 0
	s_add_u32 s34, s1, 2
	s_addc_u32 s35, s9, 0
	s_cmp_lg_u32 s30, 0
	s_cselect_b32 s30, s34, s31
	s_cselect_b32 s31, s35, s33
	s_cmp_lg_u64 s[28:29], 0
	s_subb_u32 s25, s27, s25
	s_cmp_ge_u32 s25, s3
	s_cselect_b32 s27, -1, 0
	s_cmp_ge_u32 s26, s2
	s_cselect_b32 s2, -1, 0
	s_cmp_eq_u32 s25, s3
	s_cselect_b32 s2, s2, s27
	s_cmp_lg_u32 s2, 0
	s_cselect_b32 s3, s31, s9
	s_cselect_b32 s2, s30, s1
	s_xor_b64 s[4:5], s[4:5], 0
	s_xor_b64 s[2:3], s[2:3], s[4:5]
	s_sub_u32 s4, s2, s4
	s_cbranch_execnz .LBB7_11
.LBB7_10:
	s_sub_i32 s1, 0, s22
	v_readfirstlane_b32 s2, v7
	s_mul_i32 s1, s1, s2
	s_mul_hi_u32 s1, s2, s1
	s_add_i32 s2, s2, s1
	s_mul_hi_u32 s1, s8, s2
	s_mul_i32 s3, s1, s22
	s_sub_i32 s3, s8, s3
	s_add_i32 s2, s1, 1
	s_sub_i32 s4, s3, s22
	s_cmp_ge_u32 s3, s22
	s_cselect_b32 s1, s2, s1
	s_cselect_b32 s3, s4, s3
	s_add_i32 s2, s1, 1
	s_cmp_ge_u32 s3, s22
	s_cselect_b32 s4, s2, s1
.LBB7_11:
	s_cmp_lg_u32 s6, s4
	s_cbranch_scc0 .LBB7_15
; %bb.12:
	s_add_i32 s1, s24, s22
	s_lshl_b32 s1, s1, 5
	s_add_i32 s2, s1, s15
	s_mov_b32 s3, s0
	s_lshl_b64 s[2:3], s[2:3], 3
	s_add_u32 s8, s18, s2
	s_mul_hi_u32 s1, s4, s12
	s_addc_u32 s9, s19, s3
	s_add_i32 s1, s1, s4
	s_lshr_b32 s1, s1, s13
	s_mul_i32 s2, s1, s14
	s_cmp_eq_u32 s2, s4
	s_cselect_b64 s[2:3], -1, 0
	s_cmp_lt_u32 s1, s7
	s_cselect_b64 s[26:27], -1, 0
	s_or_b64 s[26:27], s[26:27], s[2:3]
	s_mov_b64 s[2:3], -1
	s_and_b64 vcc, exec, s[26:27]
	s_mov_b32 s1, s24
	s_mov_b32 s25, s6
	s_cbranch_vccnz .LBB7_14
; %bb.13:
	s_add_i32 s1, s24, -1
	s_mov_b64 s[2:3], 0
	s_mov_b32 s25, s4
.LBB7_14:
	v_lshl_add_u32 v4, s24, 12, v6
	v_ashrrev_i32_e32 v5, 31, v4
	v_lshl_add_u64 v[4:5], v[4:5], 2, s[16:17]
	global_load_dword v5, v[4:5], off
	s_load_dwordx2 s[4:5], s[8:9], 0x0
	v_max_f32_e32 v4, v9, v9
	s_waitcnt lgkmcnt(0)
	v_max_f32_e64 v10, s4, s4
	v_max_f32_e32 v10, v4, v10
	v_sub_f32_e32 v11, v9, v10
	v_sub_f32_e32 v13, s4, v10
	v_mul_f32_e32 v4, 0x3fb8aa3b, v11
	v_mul_f32_e32 v12, 0x3fb8aa3b, v13
	v_fma_f32 v14, v11, s10, -v4
	v_rndne_f32_e32 v15, v4
	v_fma_f32 v16, v13, s10, -v12
	v_rndne_f32_e32 v17, v12
	v_fmac_f32_e32 v14, 0x32a5705f, v11
	v_sub_f32_e32 v4, v4, v15
	v_fmac_f32_e32 v16, 0x32a5705f, v13
	v_sub_f32_e32 v12, v12, v17
	v_add_f32_e32 v4, v4, v14
	v_cvt_i32_f32_e32 v15, v15
	v_add_f32_e32 v12, v12, v16
	v_exp_f32_e32 v14, v4
	v_cvt_i32_f32_e32 v17, v17
	v_exp_f32_e32 v12, v12
	v_cmp_ngt_f32_e32 vcc, s20, v11
	v_ldexp_f32 v14, v14, v15
	v_mov_b32_e32 v4, s5
	v_ldexp_f32 v12, v12, v17
	v_cndmask_b32_e32 v14, 0, v14, vcc
	v_cmp_ngt_f32_e32 vcc, s20, v13
	s_nop 1
	v_cndmask_b32_e32 v12, 0, v12, vcc
	v_cmp_nlt_f32_e32 vcc, s21, v11
	s_nop 1
	v_cndmask_b32_e32 v14, v8, v14, vcc
	v_cmp_nlt_f32_e32 vcc, s21, v13
	s_nop 1
	v_cndmask_b32_e32 v15, v8, v12, vcc
	v_cmp_le_f32_e32 vcc, s23, v11
	s_nop 1
	v_cndmask_b32_e32 v12, 0, v14, vcc
	v_cmp_le_f32_e32 vcc, s23, v13
	s_nop 1
	v_cndmask_b32_e32 v14, 0, v15, vcc
	s_waitcnt vmcnt(0)
	v_pk_mul_f32 v[4:5], v[4:5], v[14:15] op_sel_hi:[1,0]
	s_nop 0
	v_pk_fma_f32 v[4:5], v[0:1], v[12:13], v[4:5] op_sel_hi:[1,0,1]
	s_cbranch_execz .LBB7_16
	s_branch .LBB7_17
.LBB7_15:
                                        ; implicit-def: $vgpr4_vgpr5
                                        ; implicit-def: $sgpr2_sgpr3
                                        ; implicit-def: $vgpr10
                                        ; implicit-def: $sgpr1
                                        ; implicit-def: $sgpr25
.LBB7_16:
	s_add_i32 s1, s24, -1
	s_mov_b64 s[2:3], 0
	s_mov_b32 s25, s6
	v_mov_b32_e32 v10, v9
	s_waitcnt vmcnt(0)
	v_mov_b64_e32 v[4:5], v[0:1]
.LBB7_17:
	s_andn2_b64 vcc, exec, s[2:3]
	s_cbranch_vccz .LBB7_22
; %bb.18:
	s_mov_b32 s6, s25
	s_mov_b32 s24, s1
	v_mov_b32_e32 v9, v10
	s_waitcnt vmcnt(0)
	v_mov_b64_e32 v[0:1], v[4:5]
	s_mul_hi_i32 s1, s24, s11
	s_cmp_lg_u64 s[0:1], 0
	s_mul_i32 s8, s24, s11
	s_cbranch_scc1 .LBB7_9
.LBB7_19:
                                        ; implicit-def: $sgpr4_sgpr5
	s_branch .LBB7_10
.LBB7_20:
                                        ; implicit-def: $sgpr6_sgpr7
	s_load_dwordx4 s[12:15], s[0:1], 0x44
	s_branch .LBB7_2
.LBB7_21:
                                        ; implicit-def: $sgpr18_sgpr19
	s_branch .LBB7_5
.LBB7_22:
	v_div_scale_f32 v0, s[0:1], v4, v4, v5
	s_waitcnt vmcnt(0)
	v_rcp_f32_e32 v1, v0
	v_div_scale_f32 v6, vcc, v5, v4, v5
	v_fma_f32 v7, -v0, v1, 1.0
	v_fmac_f32_e32 v1, v7, v1
	v_mul_f32_e32 v7, v6, v1
	v_fma_f32 v8, -v0, v7, v6
	v_fmac_f32_e32 v7, v8, v1
	v_fma_f32 v0, -v0, v7, v6
	v_div_fmas_f32 v0, v0, v1, v7
	v_div_fixup_f32 v0, v0, v4, v5
	global_store_dword v[2:3], v0, off
.LBB7_23:
	s_endpgm
	.section	.rodata,"a",@progbits
	.p2align	6, 0x0
	.amdhsa_kernel _ZL33flash_attn_stream_k_fixup_generalILi128ELi2ELi16EEvPfPK15HIP_vector_typeIfLj2EEiiiiS1_IjLj3EES5_S5_S5_
		.amdhsa_group_segment_fixed_size 0
		.amdhsa_private_segment_fixed_size 0
		.amdhsa_kernarg_size 336
		.amdhsa_user_sgpr_count 2
		.amdhsa_user_sgpr_dispatch_ptr 0
		.amdhsa_user_sgpr_queue_ptr 0
		.amdhsa_user_sgpr_kernarg_segment_ptr 1
		.amdhsa_user_sgpr_dispatch_id 0
		.amdhsa_user_sgpr_kernarg_preload_length 0
		.amdhsa_user_sgpr_kernarg_preload_offset 0
		.amdhsa_user_sgpr_private_segment_size 0
		.amdhsa_uses_dynamic_stack 0
		.amdhsa_enable_private_segment 0
		.amdhsa_system_sgpr_workgroup_id_x 1
		.amdhsa_system_sgpr_workgroup_id_y 1
		.amdhsa_system_sgpr_workgroup_id_z 1
		.amdhsa_system_sgpr_workgroup_info 0
		.amdhsa_system_vgpr_workitem_id 0
		.amdhsa_next_free_vgpr 18
		.amdhsa_next_free_sgpr 36
		.amdhsa_accum_offset 20
		.amdhsa_reserve_vcc 1
		.amdhsa_float_round_mode_32 0
		.amdhsa_float_round_mode_16_64 0
		.amdhsa_float_denorm_mode_32 3
		.amdhsa_float_denorm_mode_16_64 3
		.amdhsa_dx10_clamp 1
		.amdhsa_ieee_mode 1
		.amdhsa_fp16_overflow 0
		.amdhsa_tg_split 0
		.amdhsa_exception_fp_ieee_invalid_op 0
		.amdhsa_exception_fp_denorm_src 0
		.amdhsa_exception_fp_ieee_div_zero 0
		.amdhsa_exception_fp_ieee_overflow 0
		.amdhsa_exception_fp_ieee_underflow 0
		.amdhsa_exception_fp_ieee_inexact 0
		.amdhsa_exception_int_div_zero 0
	.end_amdhsa_kernel
	.section	.text._ZL33flash_attn_stream_k_fixup_generalILi128ELi2ELi16EEvPfPK15HIP_vector_typeIfLj2EEiiiiS1_IjLj3EES5_S5_S5_,"axG",@progbits,_ZL33flash_attn_stream_k_fixup_generalILi128ELi2ELi16EEvPfPK15HIP_vector_typeIfLj2EEiiiiS1_IjLj3EES5_S5_S5_,comdat
.Lfunc_end7:
	.size	_ZL33flash_attn_stream_k_fixup_generalILi128ELi2ELi16EEvPfPK15HIP_vector_typeIfLj2EEiiiiS1_IjLj3EES5_S5_S5_, .Lfunc_end7-_ZL33flash_attn_stream_k_fixup_generalILi128ELi2ELi16EEvPfPK15HIP_vector_typeIfLj2EEiiiiS1_IjLj3EES5_S5_S5_
                                        ; -- End function
	.set _ZL33flash_attn_stream_k_fixup_generalILi128ELi2ELi16EEvPfPK15HIP_vector_typeIfLj2EEiiiiS1_IjLj3EES5_S5_S5_.num_vgpr, 18
	.set _ZL33flash_attn_stream_k_fixup_generalILi128ELi2ELi16EEvPfPK15HIP_vector_typeIfLj2EEiiiiS1_IjLj3EES5_S5_S5_.num_agpr, 0
	.set _ZL33flash_attn_stream_k_fixup_generalILi128ELi2ELi16EEvPfPK15HIP_vector_typeIfLj2EEiiiiS1_IjLj3EES5_S5_S5_.numbered_sgpr, 36
	.set _ZL33flash_attn_stream_k_fixup_generalILi128ELi2ELi16EEvPfPK15HIP_vector_typeIfLj2EEiiiiS1_IjLj3EES5_S5_S5_.num_named_barrier, 0
	.set _ZL33flash_attn_stream_k_fixup_generalILi128ELi2ELi16EEvPfPK15HIP_vector_typeIfLj2EEiiiiS1_IjLj3EES5_S5_S5_.private_seg_size, 0
	.set _ZL33flash_attn_stream_k_fixup_generalILi128ELi2ELi16EEvPfPK15HIP_vector_typeIfLj2EEiiiiS1_IjLj3EES5_S5_S5_.uses_vcc, 1
	.set _ZL33flash_attn_stream_k_fixup_generalILi128ELi2ELi16EEvPfPK15HIP_vector_typeIfLj2EEiiiiS1_IjLj3EES5_S5_S5_.uses_flat_scratch, 0
	.set _ZL33flash_attn_stream_k_fixup_generalILi128ELi2ELi16EEvPfPK15HIP_vector_typeIfLj2EEiiiiS1_IjLj3EES5_S5_S5_.has_dyn_sized_stack, 0
	.set _ZL33flash_attn_stream_k_fixup_generalILi128ELi2ELi16EEvPfPK15HIP_vector_typeIfLj2EEiiiiS1_IjLj3EES5_S5_S5_.has_recursion, 0
	.set _ZL33flash_attn_stream_k_fixup_generalILi128ELi2ELi16EEvPfPK15HIP_vector_typeIfLj2EEiiiiS1_IjLj3EES5_S5_S5_.has_indirect_call, 0
	.section	.AMDGPU.csdata,"",@progbits
; Kernel info:
; codeLenInByte = 2940
; TotalNumSgprs: 42
; NumVgprs: 18
; NumAgprs: 0
; TotalNumVgprs: 18
; ScratchSize: 0
; MemoryBound: 0
; FloatMode: 240
; IeeeMode: 1
; LDSByteSize: 0 bytes/workgroup (compile time only)
; SGPRBlocks: 5
; VGPRBlocks: 2
; NumSGPRsForWavesPerEU: 42
; NumVGPRsForWavesPerEU: 18
; AccumOffset: 20
; Occupancy: 8
; WaveLimiterHint : 0
; COMPUTE_PGM_RSRC2:SCRATCH_EN: 0
; COMPUTE_PGM_RSRC2:USER_SGPR: 2
; COMPUTE_PGM_RSRC2:TRAP_HANDLER: 0
; COMPUTE_PGM_RSRC2:TGID_X_EN: 1
; COMPUTE_PGM_RSRC2:TGID_Y_EN: 1
; COMPUTE_PGM_RSRC2:TGID_Z_EN: 1
; COMPUTE_PGM_RSRC2:TIDIG_COMP_CNT: 0
; COMPUTE_PGM_RSRC3_GFX90A:ACCUM_OFFSET: 4
; COMPUTE_PGM_RSRC3_GFX90A:TG_SPLIT: 0
	.section	.text._ZL26flash_attn_combine_resultsILi128EEvPKfPK15HIP_vector_typeIfLj2EEPfi,"axG",@progbits,_ZL26flash_attn_combine_resultsILi128EEvPKfPK15HIP_vector_typeIfLj2EEPfi,comdat
	.globl	_ZL26flash_attn_combine_resultsILi128EEvPKfPK15HIP_vector_typeIfLj2EEPfi ; -- Begin function _ZL26flash_attn_combine_resultsILi128EEvPKfPK15HIP_vector_typeIfLj2EEPfi
	.p2align	8
	.type	_ZL26flash_attn_combine_resultsILi128EEvPKfPK15HIP_vector_typeIfLj2EEPfi,@function
_ZL26flash_attn_combine_resultsILi128EEvPKfPK15HIP_vector_typeIfLj2EEPfi: ; @_ZL26flash_attn_combine_resultsILi128EEvPKfPK15HIP_vector_typeIfLj2EEPfi
; %bb.0:
	s_load_dwordx2 s[6:7], s[0:1], 0x20
	s_load_dword s19, s[0:1], 0x18
	s_load_dwordx4 s[8:11], s[0:1], 0x0
	s_load_dwordx2 s[14:15], s[0:1], 0x10
	s_waitcnt lgkmcnt(0)
	s_mul_i32 s0, s6, s4
	s_add_i32 s0, s0, s2
	s_mul_i32 s18, s0, s7
	s_add_i32 s18, s18, s3
	s_lshl_b32 s20, s19, 1
	s_mul_i32 s2, s18, s19
	v_cmp_gt_i32_e32 vcc, s20, v0
	s_and_saveexec_b64 s[0:1], vcc
	s_cbranch_execz .LBB8_13
; %bb.1:
	v_xad_u32 v1, v0, -1, s20
	s_movk_i32 s4, 0x7f
	s_ashr_i32 s3, s2, 31
	v_cmp_lt_u32_e32 vcc, s4, v1
	s_mov_b64 s[6:7], -1
	v_mov_b32_e32 v2, v0
	s_and_saveexec_b64 s[4:5], vcc
	s_cbranch_execz .LBB8_10
; %bb.2:
	v_lshrrev_b32_e32 v6, 7, v1
	s_lshl_b64 s[6:7], s[2:3], 3
	v_add_u32_e32 v2, -1, v6
	s_add_u32 s6, s10, s6
	v_or_b32_e32 v1, 0x80, v0
	v_lshrrev_b32_e32 v3, 1, v2
	s_addc_u32 s7, s11, s7
	s_mov_b32 s21, 0
	v_add_u32_e32 v7, 1, v3
	v_cmp_lt_u32_e32 vcc, 13, v2
	v_mov_b32_e32 v4, 0
	v_mov_b64_e32 v[2:3], v[0:1]
	s_and_saveexec_b64 s[12:13], vcc
	s_cbranch_execz .LBB8_6
; %bb.3:
	v_and_b32_e32 v8, -8, v7
	v_lshl_add_u32 v9, v0, 2, 0
	s_mov_b64 s[16:17], 0
	v_mov_b32_e32 v5, 0
	v_mov_b64_e32 v[2:3], v[0:1]
.LBB8_4:                                ; =>This Inner Loop Header: Depth=1
	v_mov_b32_e32 v4, v2
	v_lshl_add_u64 v[24:25], v[4:5], 2, s[6:7]
	v_mov_b32_e32 v4, v3
	v_add_u32_e32 v10, 0x100, v3
	v_mov_b32_e32 v11, v5
	v_lshl_add_u64 v[26:27], v[4:5], 2, s[6:7]
	v_add_u32_e32 v4, 0x100, v2
	v_lshl_add_u64 v[10:11], v[10:11], 2, s[6:7]
	global_load_dword v1, v[24:25], off
	v_lshl_add_u64 v[24:25], v[4:5], 2, s[6:7]
	v_add_u32_e32 v4, 0x200, v2
	global_load_dword v28, v[26:27], off
	global_load_dword v29, v[24:25], off
	;; [unrolled: 1-line block ×3, first 2 shown]
	v_lshl_add_u64 v[10:11], v[4:5], 2, s[6:7]
	v_add_u32_e32 v4, 0x300, v2
	v_add_u32_e32 v12, 0x200, v3
	v_mov_b32_e32 v13, v5
	v_add_u32_e32 v14, 0x300, v3
	v_mov_b32_e32 v15, v5
	v_lshl_add_u64 v[24:25], v[4:5], 2, s[6:7]
	v_add_u32_e32 v4, 0x400, v2
	v_lshl_add_u64 v[12:13], v[12:13], 2, s[6:7]
	v_lshl_add_u64 v[14:15], v[14:15], 2, s[6:7]
	global_load_dword v26, v[10:11], off
	global_load_dword v27, v[12:13], off
	;; [unrolled: 1-line block ×4, first 2 shown]
	v_lshl_add_u64 v[10:11], v[4:5], 2, s[6:7]
	v_add_u32_e32 v4, 0x500, v2
	v_add_u32_e32 v16, 0x400, v3
	v_mov_b32_e32 v17, v5
	v_add_u32_e32 v18, 0x500, v3
	v_mov_b32_e32 v19, v5
	v_lshl_add_u64 v[12:13], v[4:5], 2, s[6:7]
	v_add_u32_e32 v4, 0x600, v2
	v_add_u32_e32 v20, 0x600, v3
	v_mov_b32_e32 v21, v5
	v_add_u32_e32 v22, 0x700, v3
	v_mov_b32_e32 v23, v5
	v_lshl_add_u64 v[16:17], v[16:17], 2, s[6:7]
	v_lshl_add_u64 v[18:19], v[18:19], 2, s[6:7]
	global_load_dword v14, v[10:11], off
	global_load_dword v15, v[16:17], off
	;; [unrolled: 1-line block ×4, first 2 shown]
	v_lshl_add_u64 v[10:11], v[4:5], 2, s[6:7]
	v_add_u32_e32 v4, 0x700, v2
	v_lshl_add_u64 v[20:21], v[20:21], 2, s[6:7]
	v_lshl_add_u64 v[22:23], v[22:23], 2, s[6:7]
	;; [unrolled: 1-line block ×3, first 2 shown]
	global_load_dword v16, v[10:11], off
	global_load_dword v17, v[20:21], off
	;; [unrolled: 1-line block ×4, first 2 shown]
	v_add_u32_e32 v8, -8, v8
	s_add_i32 s21, s21, 16
	v_cmp_eq_u32_e32 vcc, 0, v8
	v_add_u32_e32 v3, 0x800, v3
	v_mov_b32_e32 v4, s21
	s_or_b64 s[16:17], vcc, s[16:17]
	v_add_u32_e32 v2, 0x800, v2
	s_waitcnt vmcnt(14)
	ds_write2st64_b32 v9, v1, v28 offset1:2
	s_waitcnt vmcnt(12)
	ds_write2st64_b32 v9, v29, v30 offset0:4 offset1:6
	s_waitcnt vmcnt(10)
	ds_write2st64_b32 v9, v26, v27 offset0:8 offset1:10
	;; [unrolled: 2-line block ×7, first 2 shown]
	v_add_u32_e32 v9, 0x2000, v9
	s_andn2_b64 exec, exec, s[16:17]
	s_cbranch_execnz .LBB8_4
; %bb.5:
	s_or_b64 exec, exec, s[16:17]
.LBB8_6:
	s_or_b64 exec, exec, s[12:13]
	v_and_b32_e32 v1, 7, v7
	v_cmp_ne_u32_e32 vcc, 0, v1
	s_and_saveexec_b64 s[12:13], vcc
	s_cbranch_execz .LBB8_9
; %bb.7:
	v_lshlrev_b32_e32 v5, 2, v0
	v_lshl_or_b32 v4, v4, 9, v5
	v_add_u32_e32 v7, 0, v4
	s_mov_b64 s[16:17], 0
	v_mov_b32_e32 v5, 0
.LBB8_8:                                ; =>This Inner Loop Header: Depth=1
	v_mov_b32_e32 v4, v2
	v_lshl_add_u64 v[8:9], v[4:5], 2, s[6:7]
	v_mov_b32_e32 v4, v3
	v_lshl_add_u64 v[10:11], v[4:5], 2, s[6:7]
	global_load_dword v4, v[8:9], off
	global_load_dword v12, v[10:11], off
	v_add_u32_e32 v1, -1, v1
	v_cmp_eq_u32_e32 vcc, 0, v1
	v_add_u32_e32 v2, 0x100, v2
	v_add_u32_e32 v3, 0x100, v3
	s_or_b64 s[16:17], vcc, s[16:17]
	s_waitcnt vmcnt(0)
	ds_write2st64_b32 v7, v4, v12 offset1:2
	v_add_u32_e32 v7, 0x400, v7
	s_andn2_b64 exec, exec, s[16:17]
	s_cbranch_execnz .LBB8_8
.LBB8_9:
	s_or_b64 exec, exec, s[12:13]
	v_add_u32_e32 v1, 1, v6
	v_and_b32_e32 v3, 0x3fffffe, v1
	v_cmp_ne_u32_e32 vcc, v1, v3
	v_lshl_or_b32 v2, v3, 7, v0
	s_orn2_b64 s[6:7], vcc, exec
.LBB8_10:
	s_or_b64 exec, exec, s[4:5]
	s_and_b64 exec, exec, s[6:7]
	s_cbranch_execz .LBB8_13
; %bb.11:
	s_lshl_b64 s[4:5], s[2:3], 3
	s_add_u32 s4, s10, s4
	v_mov_b32_e32 v3, 0
	s_addc_u32 s5, s11, s5
	v_lshl_add_u64 v[4:5], v[2:3], 2, s[4:5]
	v_lshl_add_u32 v1, v2, 2, 0
	s_mov_b64 s[4:5], 0
	s_mov_b64 s[6:7], 0x200
.LBB8_12:                               ; =>This Inner Loop Header: Depth=1
	global_load_dword v3, v[4:5], off
	v_add_u32_e32 v2, 0x80, v2
	v_cmp_le_i32_e32 vcc, s20, v2
	v_lshl_add_u64 v[4:5], v[4:5], 0, s[6:7]
	s_or_b64 s[4:5], vcc, s[4:5]
	s_waitcnt vmcnt(0)
	ds_write_b32 v1, v3
	v_add_u32_e32 v1, 0x200, v1
	s_andn2_b64 exec, exec, s[4:5]
	s_cbranch_execnz .LBB8_12
.LBB8_13:
	s_or_b64 exec, exec, s[0:1]
	v_mov_b32_e32 v1, 0
	s_waitcnt lgkmcnt(0)
	s_barrier
	ds_read_b32 v1, v1
	s_cmp_lt_i32 s19, 2
	s_cbranch_scc1 .LBB8_21
; %bb.14:
	s_cmp_eq_u32 s19, 2
	s_cbranch_scc1 .LBB8_18
; %bb.15:
	s_add_i32 s3, s19, -1
	s_and_b32 s4, s3, -2
	s_add_i32 s6, 0, 8
	s_mov_b32 s5, 2
	s_waitcnt lgkmcnt(0)
	v_mov_b32_e32 v4, v1
.LBB8_16:                               ; =>This Inner Loop Header: Depth=1
	v_mov_b32_e32 v2, v1
	v_mov_b32_e32 v1, s6
	;; [unrolled: 1-line block ×3, first 2 shown]
	ds_read2_b32 v[4:5], v1 offset1:2
	s_cmp_lg_u32 s4, s5
	s_cselect_b64 s[10:11], -1, 0
	v_max_f32_e32 v1, v3, v3
	v_max_f32_e32 v6, v2, v2
	s_waitcnt lgkmcnt(0)
	v_cmp_u_f32_e32 vcc, v5, v5
	v_max_f32_e32 v7, v5, v5
	v_max_f32_e32 v8, v4, v4
	v_cndmask_b32_e64 v5, 0, 1, vcc
	v_cmp_u_f32_e32 vcc, v4, v4
	v_readfirstlane_b32 s0, v5
	s_lshl_b32 s0, s0, 1
	v_cndmask_b32_e64 v9, 0, 1, vcc
	v_max_f32_e32 v4, v1, v7
	v_readfirstlane_b32 s1, v9
	s_or_b32 s0, s1, s0
	s_and_b32 s7, s0, 3
	s_cmp_lg_u32 s7, 0
	s_cselect_b64 s[0:1], -1, 0
	s_cmp_eq_u32 s7, 0
	s_cselect_b64 s[12:13], -1, 0
	s_and_b64 s[10:11], s[12:13], s[10:11]
	v_max_f32_e32 v1, v6, v8
	s_add_i32 s5, s5, 2
	s_add_i32 s6, s6, 16
	s_and_b64 vcc, exec, s[10:11]
	s_cbranch_vccnz .LBB8_16
; %bb.17:
	s_add_i32 s5, s5, -4
	s_and_b64 s[6:7], s[0:1], exec
	s_cselect_b32 s5, s5, s3
	s_or_b32 s5, s5, 1
	v_cndmask_b32_e64 v1, v1, v2, s[0:1]
	v_cndmask_b32_e64 v2, v4, v3, s[0:1]
	s_cmp_lg_u32 s3, s4
	v_max_f32_e32 v2, v2, v2
	v_max_f32_e32 v1, v1, v1
	s_cselect_b64 s[6:7], -1, 0
	v_max_f32_e32 v1, v1, v2
	s_or_b64 s[0:1], s[6:7], s[0:1]
	s_and_b64 vcc, exec, s[0:1]
	s_cbranch_vccnz .LBB8_19
	s_branch .LBB8_21
.LBB8_18:
	s_mov_b32 s5, 1
	s_cbranch_execz .LBB8_21
.LBB8_19:
	s_lshl_b32 s1, s5, 3
	s_sub_i32 s0, s19, s5
	s_add_i32 s1, s1, 0
.LBB8_20:                               ; =>This Inner Loop Header: Depth=1
	v_mov_b32_e32 v2, s1
	ds_read_b32 v2, v2
	s_waitcnt lgkmcnt(1)
	v_max_f32_e32 v1, v1, v1
	s_add_i32 s0, s0, -1
	s_add_i32 s1, s1, 8
	s_cmp_eq_u32 s0, 0
	s_waitcnt lgkmcnt(0)
	v_max_f32_e32 v2, v2, v2
	v_max_f32_e32 v1, v1, v2
	s_cbranch_scc0 .LBB8_20
.LBB8_21:
	s_cmp_lt_i32 s19, 1
	s_cbranch_scc1 .LBB8_26
; %bb.22:
	s_lshl_b32 s0, s2, 7
	s_ashr_i32 s1, s0, 31
	s_lshl_b64 s[0:1], s[0:1], 2
	s_add_u32 s16, s8, s0
	s_addc_u32 s17, s9, s1
	s_cmp_lt_u32 s19, 8
	s_cbranch_scc1 .LBB8_27
; %bb.23:
	v_mov_b32_e32 v7, 0
	s_and_b32 s20, s19, 0x7ffffff8
	v_or_b32_e32 v4, 0x380, v0
	s_mov_b32 s21, 0
	s_mov_b32 s22, 0x3fb8aa3b
	;; [unrolled: 1-line block ×4, first 2 shown]
	v_mov_b32_e32 v8, 0x7f800000
	s_mov_b32 s25, 0
	v_mov_b32_e32 v2, v7
	v_mov_b32_e32 v3, v7
.LBB8_24:                               ; =>This Inner Loop Header: Depth=1
	v_add_u32_e32 v6, 0xfffffc80, v4
	v_lshl_add_u64 v[26:27], v[6:7], 2, s[16:17]
	v_add_u32_e32 v6, 0xfffffd00, v4
	v_mov_b32_e32 v9, s21
	v_lshl_add_u64 v[30:31], v[6:7], 2, s[16:17]
	v_add_u32_e32 v6, 0xfffffd80, v4
	ds_read2_b64 v[10:13], v9 offset1:1
	ds_read2_b64 v[14:17], v9 offset0:2 offset1:3
	ds_read2_b64 v[18:21], v9 offset0:4 offset1:5
	;; [unrolled: 1-line block ×3, first 2 shown]
	global_load_dword v33, v[26:27], off
	global_load_dword v35, v[30:31], off
	v_lshl_add_u64 v[26:27], v[6:7], 2, s[16:17]
	v_add_u32_e32 v6, 0xfffffe00, v4
	v_lshl_add_u64 v[30:31], v[6:7], 2, s[16:17]
	v_add_u32_e32 v6, 0xfffffe80, v4
	global_load_dword v37, v[26:27], off
	global_load_dword v39, v[30:31], off
	v_lshl_add_u64 v[26:27], v[6:7], 2, s[16:17]
	v_add_u32_e32 v6, 0xffffff00, v4
	s_waitcnt lgkmcnt(3)
	v_mov_b32_e32 v32, v11
	v_sub_f32_e32 v9, v12, v1
	v_mov_b32_e32 v34, v13
	global_load_dword v11, v[26:27], off
	v_lshl_add_u64 v[12:13], v[6:7], 2, s[16:17]
	s_waitcnt lgkmcnt(2)
	v_mov_b32_e32 v36, v15
	v_add_u32_e32 v6, 0xffffff80, v4
	global_load_dword v15, v[12:13], off
	v_mov_b32_e32 v5, v7
	v_lshl_add_u64 v[12:13], v[6:7], 2, s[16:17]
	v_lshl_add_u64 v[28:29], v[4:5], 2, s[16:17]
	v_sub_f32_e32 v5, v10, v1
	v_mov_b32_e32 v38, v17
	s_waitcnt lgkmcnt(1)
	v_mov_b32_e32 v10, v19
	global_load_dword v17, v[12:13], off
	global_load_dword v19, v[28:29], off
	v_sub_f32_e32 v30, v14, v1
	v_sub_f32_e32 v31, v16, v1
	;; [unrolled: 1-line block ×3, first 2 shown]
	v_mov_b32_e32 v14, v21
	s_waitcnt lgkmcnt(0)
	v_sub_f32_e32 v21, v22, v1
	v_mov_b32_e32 v16, v23
	v_sub_f32_e32 v22, v24, v1
	v_mul_f32_e32 v23, 0x3fb8aa3b, v5
	v_mov_b32_e32 v18, v25
	v_mul_f32_e32 v24, 0x3fb8aa3b, v9
	v_mul_f32_e32 v25, 0x3fb8aa3b, v30
	;; [unrolled: 1-line block ×5, first 2 shown]
	v_fma_f32 v43, v5, s22, -v23
	v_rndne_f32_e32 v44, v23
	v_sub_f32_e32 v20, v20, v1
	v_fma_f32 v45, v9, s22, -v24
	v_rndne_f32_e32 v46, v24
	v_fma_f32 v47, v30, s22, -v25
	v_rndne_f32_e32 v48, v25
	v_fma_f32 v51, v40, s22, -v27
	v_rndne_f32_e32 v52, v27
	v_fma_f32 v55, v21, s22, -v42
	v_rndne_f32_e32 v56, v42
	v_fma_f32 v57, v22, s22, -v6
	v_rndne_f32_e32 v58, v6
	v_fmac_f32_e32 v43, 0x32a5705f, v5
	v_sub_f32_e32 v12, v23, v44
	v_mul_f32_e32 v26, 0x3fb8aa3b, v31
	v_mul_f32_e32 v41, 0x3fb8aa3b, v20
	v_fmac_f32_e32 v45, 0x32a5705f, v9
	v_sub_f32_e32 v23, v24, v46
	v_fmac_f32_e32 v47, 0x32a5705f, v30
	v_sub_f32_e32 v25, v25, v48
	;; [unrolled: 2-line block ×5, first 2 shown]
	v_add_f32_e32 v12, v12, v43
	v_fma_f32 v49, v31, s22, -v26
	v_rndne_f32_e32 v50, v26
	v_fma_f32 v53, v20, s22, -v41
	v_rndne_f32_e32 v54, v41
	v_cvt_i32_f32_e32 v13, v44
	v_add_f32_e32 v23, v23, v45
	v_add_f32_e32 v25, v25, v47
	;; [unrolled: 1-line block ×5, first 2 shown]
	v_exp_f32_e32 v12, v12
	v_cvt_i32_f32_e32 v24, v46
	v_cvt_i32_f32_e32 v28, v48
	v_fmac_f32_e32 v49, 0x32a5705f, v31
	v_sub_f32_e32 v26, v26, v50
	v_cvt_i32_f32_e32 v29, v50
	v_cvt_i32_f32_e32 v44, v52
	v_fmac_f32_e32 v53, 0x32a5705f, v20
	v_sub_f32_e32 v41, v41, v54
	v_cvt_i32_f32_e32 v48, v56
	v_cvt_i32_f32_e32 v50, v58
	v_exp_f32_e32 v23, v23
	v_exp_f32_e32 v25, v25
	;; [unrolled: 1-line block ×5, first 2 shown]
	v_add_f32_e32 v26, v26, v49
	v_add_f32_e32 v41, v41, v53
	v_cvt_i32_f32_e32 v46, v54
	v_exp_f32_e32 v26, v26
	v_exp_f32_e32 v41, v41
	v_ldexp_f32 v12, v12, v13
	v_cmp_ngt_f32_e64 s[12:13], s23, v5
	v_ldexp_f32 v13, v23, v24
	v_cmp_ngt_f32_e32 vcc, s23, v9
	v_ldexp_f32 v23, v25, v28
	v_ldexp_f32 v25, v27, v44
	;; [unrolled: 1-line block ×3, first 2 shown]
	v_cmp_ngt_f32_e64 s[8:9], s23, v21
	v_ldexp_f32 v6, v6, v50
	v_cmp_ngt_f32_e64 s[10:11], s23, v22
	v_cndmask_b32_e64 v12, 0, v12, s[12:13]
	v_cmp_nlt_f32_e64 s[12:13], s24, v5
	v_cmp_ngt_f32_e64 s[0:1], s23, v30
	v_cndmask_b32_e32 v13, 0, v13, vcc
	v_cmp_nlt_f32_e32 vcc, s24, v9
	v_cndmask_b32_e64 v27, 0, v27, s[8:9]
	v_cmp_nlt_f32_e64 s[8:9], s24, v21
	v_cndmask_b32_e64 v21, 0, v6, s[10:11]
	v_cndmask_b32_e64 v6, v8, v12, s[12:13]
	v_ldexp_f32 v24, v26, v29
	v_cmp_ngt_f32_e64 s[2:3], s23, v31
	v_cmp_ngt_f32_e64 s[4:5], s23, v40
	v_ldexp_f32 v26, v41, v46
	v_cmp_ngt_f32_e64 s[6:7], s23, v20
	v_cndmask_b32_e64 v9, 0, v23, s[0:1]
	v_cmp_nlt_f32_e64 s[0:1], s24, v30
	v_cndmask_b32_e32 v12, v8, v13, vcc
	s_waitcnt vmcnt(7)
	v_pk_fma_f32 v[2:3], v[6:7], v[32:33], v[2:3] op_sel_hi:[0,1,1]
	v_cndmask_b32_e64 v23, 0, v24, s[2:3]
	v_cmp_nlt_f32_e64 s[2:3], s24, v31
	v_cndmask_b32_e64 v24, 0, v25, s[4:5]
	v_cndmask_b32_e64 v25, 0, v26, s[6:7]
	v_cmp_nlt_f32_e64 s[6:7], s24, v20
	v_cndmask_b32_e64 v20, v8, v9, s[0:1]
	s_waitcnt vmcnt(6)
	v_pk_fma_f32 v[2:3], v[12:13], v[34:35], v[2:3] op_sel_hi:[0,1,1]
	v_cmp_nlt_f32_e64 s[4:5], s24, v40
	v_cmp_nlt_f32_e64 s[10:11], s24, v22
	v_cndmask_b32_e64 v22, v8, v23, s[2:3]
	s_waitcnt vmcnt(5)
	v_pk_fma_f32 v[2:3], v[20:21], v[36:37], v[2:3] op_sel_hi:[0,1,1]
	v_cndmask_b32_e64 v24, v8, v24, s[4:5]
	s_waitcnt vmcnt(4)
	v_pk_fma_f32 v[2:3], v[22:23], v[38:39], v[2:3] op_sel_hi:[0,1,1]
	;; [unrolled: 3-line block ×4, first 2 shown]
	s_add_i32 s25, s25, 8
	s_add_i32 s21, s21, 64
	v_cndmask_b32_e64 v30, v8, v21, s[10:11]
	s_waitcnt vmcnt(1)
	v_pk_fma_f32 v[2:3], v[28:29], v[16:17], v[2:3] op_sel_hi:[0,1,1]
	s_cmp_eq_u32 s20, s25
	v_add_u32_e32 v4, 0x400, v4
	s_waitcnt vmcnt(0)
	v_pk_fma_f32 v[2:3], v[30:31], v[18:19], v[2:3] op_sel_hi:[0,1,1]
	s_cbranch_scc0 .LBB8_24
; %bb.25:
	s_and_b32 s0, s19, 7
	s_cmp_eq_u32 s0, 0
	s_cbranch_scc0 .LBB8_28
	s_branch .LBB8_30
.LBB8_26:
	s_waitcnt lgkmcnt(0)
	v_mov_b32_e32 v1, 0x7fc00000
	s_branch .LBB8_31
.LBB8_27:
	v_mov_b32_e32 v2, 0
	s_mov_b32 s20, 0
	v_mov_b32_e32 v3, v2
	s_and_b32 s0, s19, 7
	s_cmp_eq_u32 s0, 0
	s_cbranch_scc1 .LBB8_30
.LBB8_28:
	s_lshl_b32 s1, s20, 3
	v_lshl_or_b32 v4, s20, 7, v0
	s_add_i32 s1, s1, 0
	s_mov_b32 s2, 0x3fb8aa3b
	s_mov_b32 s3, 0xc2ce8ed0
	;; [unrolled: 1-line block ×3, first 2 shown]
	v_mov_b32_e32 v6, 0x7f800000
	v_mov_b32_e32 v5, 0
.LBB8_29:                               ; =>This Inner Loop Header: Depth=1
	v_lshl_add_u64 v[8:9], v[4:5], 2, s[16:17]
	global_load_dword v9, v[8:9], off
	v_mov_b32_e32 v7, s1
	ds_read_b64 v[10:11], v7
	s_add_i32 s1, s1, 8
	s_add_i32 s0, s0, -1
	v_add_u32_e32 v4, 0x80, v4
	s_cmp_lg_u32 s0, 0
	s_waitcnt lgkmcnt(0)
	v_sub_f32_e32 v7, v10, v1
	v_mul_f32_e32 v8, 0x3fb8aa3b, v7
	v_fma_f32 v10, v7, s2, -v8
	v_rndne_f32_e32 v12, v8
	v_fmac_f32_e32 v10, 0x32a5705f, v7
	v_sub_f32_e32 v8, v8, v12
	v_add_f32_e32 v8, v8, v10
	v_cvt_i32_f32_e32 v12, v12
	v_exp_f32_e32 v10, v8
	v_cmp_ngt_f32_e32 vcc, s3, v7
	v_mov_b32_e32 v8, v11
	v_ldexp_f32 v10, v10, v12
	v_cndmask_b32_e32 v10, 0, v10, vcc
	v_cmp_nlt_f32_e32 vcc, s4, v7
	s_nop 1
	v_cndmask_b32_e32 v10, v6, v10, vcc
	s_waitcnt vmcnt(0)
	v_pk_fma_f32 v[2:3], v[10:11], v[8:9], v[2:3] op_sel_hi:[0,1,1]
	s_cbranch_scc1 .LBB8_29
.LBB8_30:
	s_waitcnt lgkmcnt(0)
	v_div_scale_f32 v1, s[0:1], v2, v2, v3
	v_rcp_f32_e32 v4, v1
	v_div_scale_f32 v5, vcc, v3, v2, v3
	v_fma_f32 v6, -v1, v4, 1.0
	v_fmac_f32_e32 v4, v6, v4
	v_mul_f32_e32 v6, v5, v4
	v_fma_f32 v7, -v1, v6, v5
	v_fmac_f32_e32 v6, v7, v4
	v_fma_f32 v1, -v1, v6, v5
	v_div_fmas_f32 v1, v1, v4, v6
	v_div_fixup_f32 v1, v1, v2, v3
.LBB8_31:
	s_lshl_b32 s0, s18, 7
	s_ashr_i32 s1, s0, 31
	s_lshl_b64 s[0:1], s[0:1], 2
	s_add_u32 s0, s14, s0
	s_addc_u32 s1, s15, s1
	v_lshlrev_b32_e32 v0, 2, v0
	global_store_dword v0, v1, s[0:1]
	s_endpgm
	.section	.rodata,"a",@progbits
	.p2align	6, 0x0
	.amdhsa_kernel _ZL26flash_attn_combine_resultsILi128EEvPKfPK15HIP_vector_typeIfLj2EEPfi
		.amdhsa_group_segment_fixed_size 0
		.amdhsa_private_segment_fixed_size 0
		.amdhsa_kernarg_size 288
		.amdhsa_user_sgpr_count 2
		.amdhsa_user_sgpr_dispatch_ptr 0
		.amdhsa_user_sgpr_queue_ptr 0
		.amdhsa_user_sgpr_kernarg_segment_ptr 1
		.amdhsa_user_sgpr_dispatch_id 0
		.amdhsa_user_sgpr_kernarg_preload_length 0
		.amdhsa_user_sgpr_kernarg_preload_offset 0
		.amdhsa_user_sgpr_private_segment_size 0
		.amdhsa_uses_dynamic_stack 0
		.amdhsa_enable_private_segment 0
		.amdhsa_system_sgpr_workgroup_id_x 1
		.amdhsa_system_sgpr_workgroup_id_y 1
		.amdhsa_system_sgpr_workgroup_id_z 1
		.amdhsa_system_sgpr_workgroup_info 0
		.amdhsa_system_vgpr_workitem_id 0
		.amdhsa_next_free_vgpr 59
		.amdhsa_next_free_sgpr 26
		.amdhsa_accum_offset 60
		.amdhsa_reserve_vcc 1
		.amdhsa_float_round_mode_32 0
		.amdhsa_float_round_mode_16_64 0
		.amdhsa_float_denorm_mode_32 3
		.amdhsa_float_denorm_mode_16_64 3
		.amdhsa_dx10_clamp 1
		.amdhsa_ieee_mode 1
		.amdhsa_fp16_overflow 0
		.amdhsa_tg_split 0
		.amdhsa_exception_fp_ieee_invalid_op 0
		.amdhsa_exception_fp_denorm_src 0
		.amdhsa_exception_fp_ieee_div_zero 0
		.amdhsa_exception_fp_ieee_overflow 0
		.amdhsa_exception_fp_ieee_underflow 0
		.amdhsa_exception_fp_ieee_inexact 0
		.amdhsa_exception_int_div_zero 0
	.end_amdhsa_kernel
	.section	.text._ZL26flash_attn_combine_resultsILi128EEvPKfPK15HIP_vector_typeIfLj2EEPfi,"axG",@progbits,_ZL26flash_attn_combine_resultsILi128EEvPKfPK15HIP_vector_typeIfLj2EEPfi,comdat
.Lfunc_end8:
	.size	_ZL26flash_attn_combine_resultsILi128EEvPKfPK15HIP_vector_typeIfLj2EEPfi, .Lfunc_end8-_ZL26flash_attn_combine_resultsILi128EEvPKfPK15HIP_vector_typeIfLj2EEPfi
                                        ; -- End function
	.set _ZL26flash_attn_combine_resultsILi128EEvPKfPK15HIP_vector_typeIfLj2EEPfi.num_vgpr, 59
	.set _ZL26flash_attn_combine_resultsILi128EEvPKfPK15HIP_vector_typeIfLj2EEPfi.num_agpr, 0
	.set _ZL26flash_attn_combine_resultsILi128EEvPKfPK15HIP_vector_typeIfLj2EEPfi.numbered_sgpr, 26
	.set _ZL26flash_attn_combine_resultsILi128EEvPKfPK15HIP_vector_typeIfLj2EEPfi.num_named_barrier, 0
	.set _ZL26flash_attn_combine_resultsILi128EEvPKfPK15HIP_vector_typeIfLj2EEPfi.private_seg_size, 0
	.set _ZL26flash_attn_combine_resultsILi128EEvPKfPK15HIP_vector_typeIfLj2EEPfi.uses_vcc, 1
	.set _ZL26flash_attn_combine_resultsILi128EEvPKfPK15HIP_vector_typeIfLj2EEPfi.uses_flat_scratch, 0
	.set _ZL26flash_attn_combine_resultsILi128EEvPKfPK15HIP_vector_typeIfLj2EEPfi.has_dyn_sized_stack, 0
	.set _ZL26flash_attn_combine_resultsILi128EEvPKfPK15HIP_vector_typeIfLj2EEPfi.has_recursion, 0
	.set _ZL26flash_attn_combine_resultsILi128EEvPKfPK15HIP_vector_typeIfLj2EEPfi.has_indirect_call, 0
	.section	.AMDGPU.csdata,"",@progbits
; Kernel info:
; codeLenInByte = 2924
; TotalNumSgprs: 32
; NumVgprs: 59
; NumAgprs: 0
; TotalNumVgprs: 59
; ScratchSize: 0
; MemoryBound: 0
; FloatMode: 240
; IeeeMode: 1
; LDSByteSize: 0 bytes/workgroup (compile time only)
; SGPRBlocks: 3
; VGPRBlocks: 7
; NumSGPRsForWavesPerEU: 32
; NumVGPRsForWavesPerEU: 59
; AccumOffset: 60
; Occupancy: 8
; WaveLimiterHint : 0
; COMPUTE_PGM_RSRC2:SCRATCH_EN: 0
; COMPUTE_PGM_RSRC2:USER_SGPR: 2
; COMPUTE_PGM_RSRC2:TRAP_HANDLER: 0
; COMPUTE_PGM_RSRC2:TGID_X_EN: 1
; COMPUTE_PGM_RSRC2:TGID_Y_EN: 1
; COMPUTE_PGM_RSRC2:TGID_Z_EN: 1
; COMPUTE_PGM_RSRC2:TIDIG_COMP_CNT: 0
; COMPUTE_PGM_RSRC3_GFX90A:ACCUM_OFFSET: 14
; COMPUTE_PGM_RSRC3_GFX90A:TG_SPLIT: 0
	.section	.text._ZL18flash_attn_ext_f16ILi576ELi512ELi2ELi16ELb0ELb1EEvPKcS1_S1_S1_S1_PKiPfP15HIP_vector_typeIfLj2EEffffjfiS5_IjLj3EEiiiiiiiiiiiliiliiiiil,"axG",@progbits,_ZL18flash_attn_ext_f16ILi576ELi512ELi2ELi16ELb0ELb1EEvPKcS1_S1_S1_S1_PKiPfP15HIP_vector_typeIfLj2EEffffjfiS5_IjLj3EEiiiiiiiiiiiliiliiiiil,comdat
	.globl	_ZL18flash_attn_ext_f16ILi576ELi512ELi2ELi16ELb0ELb1EEvPKcS1_S1_S1_S1_PKiPfP15HIP_vector_typeIfLj2EEffffjfiS5_IjLj3EEiiiiiiiiiiiliiliiiiil ; -- Begin function _ZL18flash_attn_ext_f16ILi576ELi512ELi2ELi16ELb0ELb1EEvPKcS1_S1_S1_S1_PKiPfP15HIP_vector_typeIfLj2EEffffjfiS5_IjLj3EEiiiiiiiiiiiliiliiiiil
	.p2align	8
	.type	_ZL18flash_attn_ext_f16ILi576ELi512ELi2ELi16ELb0ELb1EEvPKcS1_S1_S1_S1_PKiPfP15HIP_vector_typeIfLj2EEffffjfiS5_IjLj3EEiiiiiiiiiiiliiliiiiil,@function
_ZL18flash_attn_ext_f16ILi576ELi512ELi2ELi16ELb0ELb1EEvPKcS1_S1_S1_S1_PKiPfP15HIP_vector_typeIfLj2EEffffjfiS5_IjLj3EEiiiiiiiiiiiliiliiiiil: ; @_ZL18flash_attn_ext_f16ILi576ELi512ELi2ELi16ELb0ELb1EEvPKcS1_S1_S1_S1_PKiPfP15HIP_vector_typeIfLj2EEffffjfiS5_IjLj3EEiiiiiiiiiiiliiliiiiil
; %bb.0:
	s_add_u32 s8, s0, 0xd0
	s_addc_u32 s9, s1, 0
	s_getpc_b64 s[0:1]
	s_add_u32 s0, s0, _ZL14no_device_codePKciS0_iS0_@rel32@lo+4
	s_addc_u32 s1, s1, _ZL14no_device_codePKciS0_iS0_@rel32@hi+12
	v_mov_b32_e32 v0, 0x6ea
	s_mov_b32 s32, 0
	s_swappc_b64 s[30:31], s[0:1]
	.section	.rodata,"a",@progbits
	.p2align	6, 0x0
	.amdhsa_kernel _ZL18flash_attn_ext_f16ILi576ELi512ELi2ELi16ELb0ELb1EEvPKcS1_S1_S1_S1_PKiPfP15HIP_vector_typeIfLj2EEffffjfiS5_IjLj3EEiiiiiiiiiiiliiliiiiil
		.amdhsa_group_segment_fixed_size 0
		.amdhsa_private_segment_fixed_size 16
		.amdhsa_kernarg_size 464
		.amdhsa_user_sgpr_count 2
		.amdhsa_user_sgpr_dispatch_ptr 0
		.amdhsa_user_sgpr_queue_ptr 0
		.amdhsa_user_sgpr_kernarg_segment_ptr 1
		.amdhsa_user_sgpr_dispatch_id 0
		.amdhsa_user_sgpr_kernarg_preload_length 0
		.amdhsa_user_sgpr_kernarg_preload_offset 0
		.amdhsa_user_sgpr_private_segment_size 0
		.amdhsa_uses_dynamic_stack 0
		.amdhsa_enable_private_segment 1
		.amdhsa_system_sgpr_workgroup_id_x 1
		.amdhsa_system_sgpr_workgroup_id_y 0
		.amdhsa_system_sgpr_workgroup_id_z 0
		.amdhsa_system_sgpr_workgroup_info 0
		.amdhsa_system_vgpr_workitem_id 0
		.amdhsa_next_free_vgpr 52
		.amdhsa_next_free_sgpr 34
		.amdhsa_accum_offset 52
		.amdhsa_reserve_vcc 1
		.amdhsa_float_round_mode_32 0
		.amdhsa_float_round_mode_16_64 0
		.amdhsa_float_denorm_mode_32 3
		.amdhsa_float_denorm_mode_16_64 3
		.amdhsa_dx10_clamp 1
		.amdhsa_ieee_mode 1
		.amdhsa_fp16_overflow 0
		.amdhsa_tg_split 0
		.amdhsa_exception_fp_ieee_invalid_op 0
		.amdhsa_exception_fp_denorm_src 0
		.amdhsa_exception_fp_ieee_div_zero 0
		.amdhsa_exception_fp_ieee_overflow 0
		.amdhsa_exception_fp_ieee_underflow 0
		.amdhsa_exception_fp_ieee_inexact 0
		.amdhsa_exception_int_div_zero 0
	.end_amdhsa_kernel
	.section	.text._ZL18flash_attn_ext_f16ILi576ELi512ELi2ELi16ELb0ELb1EEvPKcS1_S1_S1_S1_PKiPfP15HIP_vector_typeIfLj2EEffffjfiS5_IjLj3EEiiiiiiiiiiiliiliiiiil,"axG",@progbits,_ZL18flash_attn_ext_f16ILi576ELi512ELi2ELi16ELb0ELb1EEvPKcS1_S1_S1_S1_PKiPfP15HIP_vector_typeIfLj2EEffffjfiS5_IjLj3EEiiiiiiiiiiiliiliiiiil,comdat
.Lfunc_end9:
	.size	_ZL18flash_attn_ext_f16ILi576ELi512ELi2ELi16ELb0ELb1EEvPKcS1_S1_S1_S1_PKiPfP15HIP_vector_typeIfLj2EEffffjfiS5_IjLj3EEiiiiiiiiiiiliiliiiiil, .Lfunc_end9-_ZL18flash_attn_ext_f16ILi576ELi512ELi2ELi16ELb0ELb1EEvPKcS1_S1_S1_S1_PKiPfP15HIP_vector_typeIfLj2EEffffjfiS5_IjLj3EEiiiiiiiiiiiliiliiiiil
                                        ; -- End function
	.set _ZL18flash_attn_ext_f16ILi576ELi512ELi2ELi16ELb0ELb1EEvPKcS1_S1_S1_S1_PKiPfP15HIP_vector_typeIfLj2EEffffjfiS5_IjLj3EEiiiiiiiiiiiliiliiiiil.num_vgpr, max(1, .L_ZL14no_device_codePKciS0_iS0_.num_vgpr)
	.set _ZL18flash_attn_ext_f16ILi576ELi512ELi2ELi16ELb0ELb1EEvPKcS1_S1_S1_S1_PKiPfP15HIP_vector_typeIfLj2EEffffjfiS5_IjLj3EEiiiiiiiiiiiliiliiiiil.num_agpr, max(0, .L_ZL14no_device_codePKciS0_iS0_.num_agpr)
	.set _ZL18flash_attn_ext_f16ILi576ELi512ELi2ELi16ELb0ELb1EEvPKcS1_S1_S1_S1_PKiPfP15HIP_vector_typeIfLj2EEffffjfiS5_IjLj3EEiiiiiiiiiiiliiliiiiil.numbered_sgpr, max(33, .L_ZL14no_device_codePKciS0_iS0_.numbered_sgpr)
	.set _ZL18flash_attn_ext_f16ILi576ELi512ELi2ELi16ELb0ELb1EEvPKcS1_S1_S1_S1_PKiPfP15HIP_vector_typeIfLj2EEffffjfiS5_IjLj3EEiiiiiiiiiiiliiliiiiil.num_named_barrier, max(0, .L_ZL14no_device_codePKciS0_iS0_.num_named_barrier)
	.set _ZL18flash_attn_ext_f16ILi576ELi512ELi2ELi16ELb0ELb1EEvPKcS1_S1_S1_S1_PKiPfP15HIP_vector_typeIfLj2EEffffjfiS5_IjLj3EEiiiiiiiiiiiliiliiiiil.private_seg_size, 0+max(.L_ZL14no_device_codePKciS0_iS0_.private_seg_size)
	.set _ZL18flash_attn_ext_f16ILi576ELi512ELi2ELi16ELb0ELb1EEvPKcS1_S1_S1_S1_PKiPfP15HIP_vector_typeIfLj2EEffffjfiS5_IjLj3EEiiiiiiiiiiiliiliiiiil.uses_vcc, or(1, .L_ZL14no_device_codePKciS0_iS0_.uses_vcc)
	.set _ZL18flash_attn_ext_f16ILi576ELi512ELi2ELi16ELb0ELb1EEvPKcS1_S1_S1_S1_PKiPfP15HIP_vector_typeIfLj2EEffffjfiS5_IjLj3EEiiiiiiiiiiiliiliiiiil.uses_flat_scratch, or(0, .L_ZL14no_device_codePKciS0_iS0_.uses_flat_scratch)
	.set _ZL18flash_attn_ext_f16ILi576ELi512ELi2ELi16ELb0ELb1EEvPKcS1_S1_S1_S1_PKiPfP15HIP_vector_typeIfLj2EEffffjfiS5_IjLj3EEiiiiiiiiiiiliiliiiiil.has_dyn_sized_stack, or(0, .L_ZL14no_device_codePKciS0_iS0_.has_dyn_sized_stack)
	.set _ZL18flash_attn_ext_f16ILi576ELi512ELi2ELi16ELb0ELb1EEvPKcS1_S1_S1_S1_PKiPfP15HIP_vector_typeIfLj2EEffffjfiS5_IjLj3EEiiiiiiiiiiiliiliiiiil.has_recursion, or(0, .L_ZL14no_device_codePKciS0_iS0_.has_recursion)
	.set _ZL18flash_attn_ext_f16ILi576ELi512ELi2ELi16ELb0ELb1EEvPKcS1_S1_S1_S1_PKiPfP15HIP_vector_typeIfLj2EEffffjfiS5_IjLj3EEiiiiiiiiiiiliiliiiiil.has_indirect_call, or(0, .L_ZL14no_device_codePKciS0_iS0_.has_indirect_call)
	.section	.AMDGPU.csdata,"",@progbits
; Kernel info:
; codeLenInByte = 48
; TotalNumSgprs: 40
; NumVgprs: 52
; NumAgprs: 0
; TotalNumVgprs: 52
; ScratchSize: 16
; MemoryBound: 0
; FloatMode: 240
; IeeeMode: 1
; LDSByteSize: 0 bytes/workgroup (compile time only)
; SGPRBlocks: 4
; VGPRBlocks: 6
; NumSGPRsForWavesPerEU: 40
; NumVGPRsForWavesPerEU: 52
; AccumOffset: 52
; Occupancy: 8
; WaveLimiterHint : 1
; COMPUTE_PGM_RSRC2:SCRATCH_EN: 1
; COMPUTE_PGM_RSRC2:USER_SGPR: 2
; COMPUTE_PGM_RSRC2:TRAP_HANDLER: 0
; COMPUTE_PGM_RSRC2:TGID_X_EN: 1
; COMPUTE_PGM_RSRC2:TGID_Y_EN: 0
; COMPUTE_PGM_RSRC2:TGID_Z_EN: 0
; COMPUTE_PGM_RSRC2:TIDIG_COMP_CNT: 0
; COMPUTE_PGM_RSRC3_GFX90A:ACCUM_OFFSET: 12
; COMPUTE_PGM_RSRC3_GFX90A:TG_SPLIT: 0
	.section	.text._ZL18flash_attn_ext_f16ILi576ELi512ELi2ELi16ELb1ELb1EEvPKcS1_S1_S1_S1_PKiPfP15HIP_vector_typeIfLj2EEffffjfiS5_IjLj3EEiiiiiiiiiiiliiliiiiil,"axG",@progbits,_ZL18flash_attn_ext_f16ILi576ELi512ELi2ELi16ELb1ELb1EEvPKcS1_S1_S1_S1_PKiPfP15HIP_vector_typeIfLj2EEffffjfiS5_IjLj3EEiiiiiiiiiiiliiliiiiil,comdat
	.globl	_ZL18flash_attn_ext_f16ILi576ELi512ELi2ELi16ELb1ELb1EEvPKcS1_S1_S1_S1_PKiPfP15HIP_vector_typeIfLj2EEffffjfiS5_IjLj3EEiiiiiiiiiiiliiliiiiil ; -- Begin function _ZL18flash_attn_ext_f16ILi576ELi512ELi2ELi16ELb1ELb1EEvPKcS1_S1_S1_S1_PKiPfP15HIP_vector_typeIfLj2EEffffjfiS5_IjLj3EEiiiiiiiiiiiliiliiiiil
	.p2align	8
	.type	_ZL18flash_attn_ext_f16ILi576ELi512ELi2ELi16ELb1ELb1EEvPKcS1_S1_S1_S1_PKiPfP15HIP_vector_typeIfLj2EEffffjfiS5_IjLj3EEiiiiiiiiiiiliiliiiiil,@function
_ZL18flash_attn_ext_f16ILi576ELi512ELi2ELi16ELb1ELb1EEvPKcS1_S1_S1_S1_PKiPfP15HIP_vector_typeIfLj2EEffffjfiS5_IjLj3EEiiiiiiiiiiiliiliiiiil: ; @_ZL18flash_attn_ext_f16ILi576ELi512ELi2ELi16ELb1ELb1EEvPKcS1_S1_S1_S1_PKiPfP15HIP_vector_typeIfLj2EEffffjfiS5_IjLj3EEiiiiiiiiiiiliiliiiiil
; %bb.0:
	s_add_u32 s8, s0, 0xd0
	s_addc_u32 s9, s1, 0
	s_getpc_b64 s[0:1]
	s_add_u32 s0, s0, _ZL14no_device_codePKciS0_iS0_@rel32@lo+4
	s_addc_u32 s1, s1, _ZL14no_device_codePKciS0_iS0_@rel32@hi+12
	v_mov_b32_e32 v0, 0x6cc
	s_mov_b32 s32, 0
	s_swappc_b64 s[30:31], s[0:1]
	.section	.rodata,"a",@progbits
	.p2align	6, 0x0
	.amdhsa_kernel _ZL18flash_attn_ext_f16ILi576ELi512ELi2ELi16ELb1ELb1EEvPKcS1_S1_S1_S1_PKiPfP15HIP_vector_typeIfLj2EEffffjfiS5_IjLj3EEiiiiiiiiiiiliiliiiiil
		.amdhsa_group_segment_fixed_size 0
		.amdhsa_private_segment_fixed_size 16
		.amdhsa_kernarg_size 464
		.amdhsa_user_sgpr_count 2
		.amdhsa_user_sgpr_dispatch_ptr 0
		.amdhsa_user_sgpr_queue_ptr 0
		.amdhsa_user_sgpr_kernarg_segment_ptr 1
		.amdhsa_user_sgpr_dispatch_id 0
		.amdhsa_user_sgpr_kernarg_preload_length 0
		.amdhsa_user_sgpr_kernarg_preload_offset 0
		.amdhsa_user_sgpr_private_segment_size 0
		.amdhsa_uses_dynamic_stack 0
		.amdhsa_enable_private_segment 1
		.amdhsa_system_sgpr_workgroup_id_x 1
		.amdhsa_system_sgpr_workgroup_id_y 0
		.amdhsa_system_sgpr_workgroup_id_z 0
		.amdhsa_system_sgpr_workgroup_info 0
		.amdhsa_system_vgpr_workitem_id 0
		.amdhsa_next_free_vgpr 52
		.amdhsa_next_free_sgpr 34
		.amdhsa_accum_offset 52
		.amdhsa_reserve_vcc 1
		.amdhsa_float_round_mode_32 0
		.amdhsa_float_round_mode_16_64 0
		.amdhsa_float_denorm_mode_32 3
		.amdhsa_float_denorm_mode_16_64 3
		.amdhsa_dx10_clamp 1
		.amdhsa_ieee_mode 1
		.amdhsa_fp16_overflow 0
		.amdhsa_tg_split 0
		.amdhsa_exception_fp_ieee_invalid_op 0
		.amdhsa_exception_fp_denorm_src 0
		.amdhsa_exception_fp_ieee_div_zero 0
		.amdhsa_exception_fp_ieee_overflow 0
		.amdhsa_exception_fp_ieee_underflow 0
		.amdhsa_exception_fp_ieee_inexact 0
		.amdhsa_exception_int_div_zero 0
	.end_amdhsa_kernel
	.section	.text._ZL18flash_attn_ext_f16ILi576ELi512ELi2ELi16ELb1ELb1EEvPKcS1_S1_S1_S1_PKiPfP15HIP_vector_typeIfLj2EEffffjfiS5_IjLj3EEiiiiiiiiiiiliiliiiiil,"axG",@progbits,_ZL18flash_attn_ext_f16ILi576ELi512ELi2ELi16ELb1ELb1EEvPKcS1_S1_S1_S1_PKiPfP15HIP_vector_typeIfLj2EEffffjfiS5_IjLj3EEiiiiiiiiiiiliiliiiiil,comdat
.Lfunc_end10:
	.size	_ZL18flash_attn_ext_f16ILi576ELi512ELi2ELi16ELb1ELb1EEvPKcS1_S1_S1_S1_PKiPfP15HIP_vector_typeIfLj2EEffffjfiS5_IjLj3EEiiiiiiiiiiiliiliiiiil, .Lfunc_end10-_ZL18flash_attn_ext_f16ILi576ELi512ELi2ELi16ELb1ELb1EEvPKcS1_S1_S1_S1_PKiPfP15HIP_vector_typeIfLj2EEffffjfiS5_IjLj3EEiiiiiiiiiiiliiliiiiil
                                        ; -- End function
	.set _ZL18flash_attn_ext_f16ILi576ELi512ELi2ELi16ELb1ELb1EEvPKcS1_S1_S1_S1_PKiPfP15HIP_vector_typeIfLj2EEffffjfiS5_IjLj3EEiiiiiiiiiiiliiliiiiil.num_vgpr, max(1, .L_ZL14no_device_codePKciS0_iS0_.num_vgpr)
	.set _ZL18flash_attn_ext_f16ILi576ELi512ELi2ELi16ELb1ELb1EEvPKcS1_S1_S1_S1_PKiPfP15HIP_vector_typeIfLj2EEffffjfiS5_IjLj3EEiiiiiiiiiiiliiliiiiil.num_agpr, max(0, .L_ZL14no_device_codePKciS0_iS0_.num_agpr)
	.set _ZL18flash_attn_ext_f16ILi576ELi512ELi2ELi16ELb1ELb1EEvPKcS1_S1_S1_S1_PKiPfP15HIP_vector_typeIfLj2EEffffjfiS5_IjLj3EEiiiiiiiiiiiliiliiiiil.numbered_sgpr, max(33, .L_ZL14no_device_codePKciS0_iS0_.numbered_sgpr)
	.set _ZL18flash_attn_ext_f16ILi576ELi512ELi2ELi16ELb1ELb1EEvPKcS1_S1_S1_S1_PKiPfP15HIP_vector_typeIfLj2EEffffjfiS5_IjLj3EEiiiiiiiiiiiliiliiiiil.num_named_barrier, max(0, .L_ZL14no_device_codePKciS0_iS0_.num_named_barrier)
	.set _ZL18flash_attn_ext_f16ILi576ELi512ELi2ELi16ELb1ELb1EEvPKcS1_S1_S1_S1_PKiPfP15HIP_vector_typeIfLj2EEffffjfiS5_IjLj3EEiiiiiiiiiiiliiliiiiil.private_seg_size, 0+max(.L_ZL14no_device_codePKciS0_iS0_.private_seg_size)
	.set _ZL18flash_attn_ext_f16ILi576ELi512ELi2ELi16ELb1ELb1EEvPKcS1_S1_S1_S1_PKiPfP15HIP_vector_typeIfLj2EEffffjfiS5_IjLj3EEiiiiiiiiiiiliiliiiiil.uses_vcc, or(1, .L_ZL14no_device_codePKciS0_iS0_.uses_vcc)
	.set _ZL18flash_attn_ext_f16ILi576ELi512ELi2ELi16ELb1ELb1EEvPKcS1_S1_S1_S1_PKiPfP15HIP_vector_typeIfLj2EEffffjfiS5_IjLj3EEiiiiiiiiiiiliiliiiiil.uses_flat_scratch, or(0, .L_ZL14no_device_codePKciS0_iS0_.uses_flat_scratch)
	.set _ZL18flash_attn_ext_f16ILi576ELi512ELi2ELi16ELb1ELb1EEvPKcS1_S1_S1_S1_PKiPfP15HIP_vector_typeIfLj2EEffffjfiS5_IjLj3EEiiiiiiiiiiiliiliiiiil.has_dyn_sized_stack, or(0, .L_ZL14no_device_codePKciS0_iS0_.has_dyn_sized_stack)
	.set _ZL18flash_attn_ext_f16ILi576ELi512ELi2ELi16ELb1ELb1EEvPKcS1_S1_S1_S1_PKiPfP15HIP_vector_typeIfLj2EEffffjfiS5_IjLj3EEiiiiiiiiiiiliiliiiiil.has_recursion, or(0, .L_ZL14no_device_codePKciS0_iS0_.has_recursion)
	.set _ZL18flash_attn_ext_f16ILi576ELi512ELi2ELi16ELb1ELb1EEvPKcS1_S1_S1_S1_PKiPfP15HIP_vector_typeIfLj2EEffffjfiS5_IjLj3EEiiiiiiiiiiiliiliiiiil.has_indirect_call, or(0, .L_ZL14no_device_codePKciS0_iS0_.has_indirect_call)
	.section	.AMDGPU.csdata,"",@progbits
; Kernel info:
; codeLenInByte = 48
; TotalNumSgprs: 40
; NumVgprs: 52
; NumAgprs: 0
; TotalNumVgprs: 52
; ScratchSize: 16
; MemoryBound: 0
; FloatMode: 240
; IeeeMode: 1
; LDSByteSize: 0 bytes/workgroup (compile time only)
; SGPRBlocks: 4
; VGPRBlocks: 6
; NumSGPRsForWavesPerEU: 40
; NumVGPRsForWavesPerEU: 52
; AccumOffset: 52
; Occupancy: 8
; WaveLimiterHint : 1
; COMPUTE_PGM_RSRC2:SCRATCH_EN: 1
; COMPUTE_PGM_RSRC2:USER_SGPR: 2
; COMPUTE_PGM_RSRC2:TRAP_HANDLER: 0
; COMPUTE_PGM_RSRC2:TGID_X_EN: 1
; COMPUTE_PGM_RSRC2:TGID_Y_EN: 0
; COMPUTE_PGM_RSRC2:TGID_Z_EN: 0
; COMPUTE_PGM_RSRC2:TIDIG_COMP_CNT: 0
; COMPUTE_PGM_RSRC3_GFX90A:ACCUM_OFFSET: 12
; COMPUTE_PGM_RSRC3_GFX90A:TG_SPLIT: 0
	.section	.text._ZL33flash_attn_stream_k_fixup_uniformILi512ELi2ELi16EEvPfPK15HIP_vector_typeIfLj2EEiiiiiiS1_IjLj3EES5_S5_,"axG",@progbits,_ZL33flash_attn_stream_k_fixup_uniformILi512ELi2ELi16EEvPfPK15HIP_vector_typeIfLj2EEiiiiiiS1_IjLj3EES5_S5_,comdat
	.globl	_ZL33flash_attn_stream_k_fixup_uniformILi512ELi2ELi16EEvPfPK15HIP_vector_typeIfLj2EEiiiiiiS1_IjLj3EES5_S5_ ; -- Begin function _ZL33flash_attn_stream_k_fixup_uniformILi512ELi2ELi16EEvPfPK15HIP_vector_typeIfLj2EEiiiiiiS1_IjLj3EES5_S5_
	.p2align	8
	.type	_ZL33flash_attn_stream_k_fixup_uniformILi512ELi2ELi16EEvPfPK15HIP_vector_typeIfLj2EEiiiiiiS1_IjLj3EES5_S5_,@function
_ZL33flash_attn_stream_k_fixup_uniformILi512ELi2ELi16EEvPfPK15HIP_vector_typeIfLj2EEiiiiiiS1_IjLj3EES5_S5_: ; @_ZL33flash_attn_stream_k_fixup_uniformILi512ELi2ELi16EEvPfPK15HIP_vector_typeIfLj2EEiiiiiiS1_IjLj3EES5_S5_
; %bb.0:
	s_load_dwordx8 s[8:15], s[0:1], 0x1c
	s_load_dwordx2 s[6:7], s[0:1], 0x10
	s_load_dwordx4 s[20:23], s[0:1], 0x3c
	s_waitcnt lgkmcnt(0)
	s_mul_hi_u32 s5, s11, s2
	s_add_i32 s5, s2, s5
	s_lshr_b32 s5, s5, s12
	s_mul_i32 s11, s5, s13
	s_sub_i32 s11, s2, s11
	s_mul_hi_u32 s12, s11, s14
	s_add_i32 s12, s11, s12
	s_lshr_b32 s16, s12, s15
	s_mul_i32 s12, s16, s20
	s_sub_i32 s11, s11, s12
	;; [unrolled: 5-line block ×3, first 2 shown]
	s_lshl_b32 s11, s12, 4
	s_lshl_b32 s12, s17, 1
	s_add_i32 s12, s12, s3
	s_cmp_lt_i32 s12, s6
	s_cselect_b64 s[12:13], -1, 0
	s_add_i32 s14, s11, s4
	s_cmp_lt_i32 s14, s9
	s_cselect_b64 s[14:15], -1, 0
	s_and_b64 s[12:13], s[12:13], s[14:15]
	s_andn2_b64 vcc, exec, s[12:13]
	s_cbranch_vccnz .LBB11_6
; %bb.1:
	s_load_dwordx4 s[12:15], s[0:1], 0x0
	s_mul_i32 s0, s5, s6
	s_add_i32 s0, s0, s3
	s_mul_i32 s0, s0, s7
	s_mul_i32 s16, s16, s9
	s_add_i32 s0, s0, s4
	s_add_i32 s0, s0, s16
	s_mul_i32 s1, s7, s17
	s_add_i32 s0, s0, s11
	s_lshl_b32 s1, s1, 10
	s_lshl_b32 s0, s0, 9
	s_add_i32 s1, s1, s0
	v_or_b32_e32 v4, s1, v0
	s_waitcnt lgkmcnt(0)
	v_mov_b32_e32 v2, s12
	v_mov_b32_e32 v3, s13
	v_ashrrev_i32_e32 v5, 31, v4
	v_lshl_add_u64 v[2:3], v[4:5], 2, v[2:3]
	global_load_dword v5, v[2:3], off
	s_mul_i32 s5, s10, s2
	s_lshl_b32 s11, s3, 4
	s_add_i32 s9, s5, s10
	s_add_i32 s0, s11, s4
	s_lshl_b32 s1, s9, 5
	s_add_i32 s0, s0, s1
	s_sub_i32 s0, s0, 32
	s_ashr_i32 s1, s0, 31
	s_lshl_b64 s[0:1], s[0:1], 3
	s_add_u32 s0, s14, s0
	s_addc_u32 s1, s15, s1
	s_load_dword s12, s[0:1], 0x4
	s_add_i32 s6, s9, -2
	s_cmp_lt_i32 s6, s5
	s_cbranch_scc1 .LBB11_4
; %bb.2:
	s_lshl_b32 s6, s8, 7
	s_ashr_i32 s7, s6, 31
	s_lshl_b64 s[6:7], s[6:7], 2
	s_add_u32 s6, s14, s6
	s_addc_u32 s7, s15, s7
	s_add_i32 s2, s2, 1
	s_load_dword s0, s[0:1], 0x0
	s_mul_i32 s1, s10, s2
	s_lshl_b32 s3, s3, 13
	s_lshl_b32 s10, s4, 9
	;; [unrolled: 1-line block ×3, first 2 shown]
	s_add_i32 s3, s10, s3
	s_lshl_b32 s1, s1, 5
	s_add_i32 s3, s3, s2
	s_add_i32 s1, s4, s1
	s_lshl_b32 s2, s8, 5
	s_add_i32 s1, s1, s2
	v_or_b32_e32 v0, s3, v0
	s_add_i32 s1, s1, s11
	s_add_i32 s9, s9, -1
	v_add_u32_e32 v0, 0xffff8000, v0
	s_sub_i32 s2, s1, 64
	s_waitcnt lgkmcnt(0)
	v_mov_b32_e32 v7, s0
	v_mov_b32_e32 v4, s12
	s_mov_b32 s4, 0x3fb8aa3b
	s_mov_b32 s8, 0xc2ce8ed0
	;; [unrolled: 1-line block ×3, first 2 shown]
	v_mov_b32_e32 v6, 0x7f800000
	s_mov_b32 s11, 0xc1a00000
.LBB11_3:                               ; =>This Inner Loop Header: Depth=1
	v_ashrrev_i32_e32 v1, 31, v0
	v_lshl_add_u64 v[8:9], v[0:1], 2, s[6:7]
	global_load_dword v9, v[8:9], off
	s_ashr_i32 s3, s2, 31
	s_lshl_b64 s[0:1], s[2:3], 3
	s_add_u32 s0, s14, s0
	s_addc_u32 s1, s15, s1
	s_load_dwordx2 s[0:1], s[0:1], 0x0
	v_max_f32_e32 v1, v7, v7
	s_add_i32 s9, s9, -1
	s_sub_i32 s2, s2, 32
	v_add_u32_e32 v0, 0xffffc000, v0
	s_waitcnt lgkmcnt(0)
	v_max_f32_e64 v10, s0, s0
	v_max_f32_e32 v1, v1, v10
	v_sub_f32_e32 v11, s0, v1
	v_sub_f32_e32 v10, v7, v1
	v_mul_f32_e32 v12, 0x3fb8aa3b, v11
	v_mov_b32_e32 v7, v1
	v_mul_f32_e32 v1, 0x3fb8aa3b, v10
	v_fma_f32 v15, v11, s4, -v12
	v_rndne_f32_e32 v16, v12
	v_fma_f32 v13, v10, s4, -v1
	v_rndne_f32_e32 v14, v1
	v_fmac_f32_e32 v15, 0x32a5705f, v11
	v_sub_f32_e32 v12, v12, v16
	v_fmac_f32_e32 v13, 0x32a5705f, v10
	v_sub_f32_e32 v1, v1, v14
	v_add_f32_e32 v12, v12, v15
	v_cvt_i32_f32_e32 v16, v16
	v_add_f32_e32 v1, v1, v13
	v_exp_f32_e32 v12, v12
	v_cvt_i32_f32_e32 v14, v14
	v_exp_f32_e32 v1, v1
	v_cmp_ngt_f32_e32 vcc, s8, v11
	v_ldexp_f32 v12, v12, v16
	v_mov_b32_e32 v8, s1
	v_ldexp_f32 v1, v1, v14
	v_cmp_ngt_f32_e64 s[0:1], s8, v10
	v_cndmask_b32_e32 v12, 0, v12, vcc
	v_cmp_nlt_f32_e32 vcc, s10, v11
	v_cndmask_b32_e64 v1, 0, v1, s[0:1]
	v_cmp_nlt_f32_e64 s[0:1], s10, v10
	v_cndmask_b32_e32 v12, v6, v12, vcc
	v_cmp_le_f32_e32 vcc, s11, v11
	v_cndmask_b32_e64 v1, v6, v1, s[0:1]
	v_cmp_le_f32_e64 s[0:1], s11, v10
	v_cndmask_b32_e32 v12, 0, v12, vcc
	s_cmp_le_i32 s9, s5
	v_cndmask_b32_e64 v10, 0, v1, s[0:1]
	s_waitcnt vmcnt(0)
	v_pk_mul_f32 v[8:9], v[8:9], v[12:13] op_sel_hi:[1,0]
	s_nop 0
	v_pk_fma_f32 v[4:5], v[4:5], v[10:11], v[8:9] op_sel_hi:[1,0,1]
	s_cbranch_scc0 .LBB11_3
	s_branch .LBB11_5
.LBB11_4:
	s_waitcnt lgkmcnt(0)
	v_mov_b32_e32 v4, s12
.LBB11_5:
	s_waitcnt vmcnt(0)
	v_div_scale_f32 v0, s[0:1], v4, v4, v5
	v_rcp_f32_e32 v1, v0
	v_div_scale_f32 v6, vcc, v5, v4, v5
	v_fma_f32 v7, -v0, v1, 1.0
	v_fmac_f32_e32 v1, v7, v1
	v_mul_f32_e32 v7, v6, v1
	v_fma_f32 v8, -v0, v7, v6
	v_fmac_f32_e32 v7, v8, v1
	v_fma_f32 v0, -v0, v7, v6
	v_div_fmas_f32 v0, v0, v1, v7
	v_div_fixup_f32 v0, v0, v4, v5
	global_store_dword v[2:3], v0, off
.LBB11_6:
	s_endpgm
	.section	.rodata,"a",@progbits
	.p2align	6, 0x0
	.amdhsa_kernel _ZL33flash_attn_stream_k_fixup_uniformILi512ELi2ELi16EEvPfPK15HIP_vector_typeIfLj2EEiiiiiiS1_IjLj3EES5_S5_
		.amdhsa_group_segment_fixed_size 0
		.amdhsa_private_segment_fixed_size 0
		.amdhsa_kernarg_size 76
		.amdhsa_user_sgpr_count 2
		.amdhsa_user_sgpr_dispatch_ptr 0
		.amdhsa_user_sgpr_queue_ptr 0
		.amdhsa_user_sgpr_kernarg_segment_ptr 1
		.amdhsa_user_sgpr_dispatch_id 0
		.amdhsa_user_sgpr_kernarg_preload_length 0
		.amdhsa_user_sgpr_kernarg_preload_offset 0
		.amdhsa_user_sgpr_private_segment_size 0
		.amdhsa_uses_dynamic_stack 0
		.amdhsa_enable_private_segment 0
		.amdhsa_system_sgpr_workgroup_id_x 1
		.amdhsa_system_sgpr_workgroup_id_y 1
		.amdhsa_system_sgpr_workgroup_id_z 1
		.amdhsa_system_sgpr_workgroup_info 0
		.amdhsa_system_vgpr_workitem_id 0
		.amdhsa_next_free_vgpr 17
		.amdhsa_next_free_sgpr 24
		.amdhsa_accum_offset 20
		.amdhsa_reserve_vcc 1
		.amdhsa_float_round_mode_32 0
		.amdhsa_float_round_mode_16_64 0
		.amdhsa_float_denorm_mode_32 3
		.amdhsa_float_denorm_mode_16_64 3
		.amdhsa_dx10_clamp 1
		.amdhsa_ieee_mode 1
		.amdhsa_fp16_overflow 0
		.amdhsa_tg_split 0
		.amdhsa_exception_fp_ieee_invalid_op 0
		.amdhsa_exception_fp_denorm_src 0
		.amdhsa_exception_fp_ieee_div_zero 0
		.amdhsa_exception_fp_ieee_overflow 0
		.amdhsa_exception_fp_ieee_underflow 0
		.amdhsa_exception_fp_ieee_inexact 0
		.amdhsa_exception_int_div_zero 0
	.end_amdhsa_kernel
	.section	.text._ZL33flash_attn_stream_k_fixup_uniformILi512ELi2ELi16EEvPfPK15HIP_vector_typeIfLj2EEiiiiiiS1_IjLj3EES5_S5_,"axG",@progbits,_ZL33flash_attn_stream_k_fixup_uniformILi512ELi2ELi16EEvPfPK15HIP_vector_typeIfLj2EEiiiiiiS1_IjLj3EES5_S5_,comdat
.Lfunc_end11:
	.size	_ZL33flash_attn_stream_k_fixup_uniformILi512ELi2ELi16EEvPfPK15HIP_vector_typeIfLj2EEiiiiiiS1_IjLj3EES5_S5_, .Lfunc_end11-_ZL33flash_attn_stream_k_fixup_uniformILi512ELi2ELi16EEvPfPK15HIP_vector_typeIfLj2EEiiiiiiS1_IjLj3EES5_S5_
                                        ; -- End function
	.set _ZL33flash_attn_stream_k_fixup_uniformILi512ELi2ELi16EEvPfPK15HIP_vector_typeIfLj2EEiiiiiiS1_IjLj3EES5_S5_.num_vgpr, 17
	.set _ZL33flash_attn_stream_k_fixup_uniformILi512ELi2ELi16EEvPfPK15HIP_vector_typeIfLj2EEiiiiiiS1_IjLj3EES5_S5_.num_agpr, 0
	.set _ZL33flash_attn_stream_k_fixup_uniformILi512ELi2ELi16EEvPfPK15HIP_vector_typeIfLj2EEiiiiiiS1_IjLj3EES5_S5_.numbered_sgpr, 24
	.set _ZL33flash_attn_stream_k_fixup_uniformILi512ELi2ELi16EEvPfPK15HIP_vector_typeIfLj2EEiiiiiiS1_IjLj3EES5_S5_.num_named_barrier, 0
	.set _ZL33flash_attn_stream_k_fixup_uniformILi512ELi2ELi16EEvPfPK15HIP_vector_typeIfLj2EEiiiiiiS1_IjLj3EES5_S5_.private_seg_size, 0
	.set _ZL33flash_attn_stream_k_fixup_uniformILi512ELi2ELi16EEvPfPK15HIP_vector_typeIfLj2EEiiiiiiS1_IjLj3EES5_S5_.uses_vcc, 1
	.set _ZL33flash_attn_stream_k_fixup_uniformILi512ELi2ELi16EEvPfPK15HIP_vector_typeIfLj2EEiiiiiiS1_IjLj3EES5_S5_.uses_flat_scratch, 0
	.set _ZL33flash_attn_stream_k_fixup_uniformILi512ELi2ELi16EEvPfPK15HIP_vector_typeIfLj2EEiiiiiiS1_IjLj3EES5_S5_.has_dyn_sized_stack, 0
	.set _ZL33flash_attn_stream_k_fixup_uniformILi512ELi2ELi16EEvPfPK15HIP_vector_typeIfLj2EEiiiiiiS1_IjLj3EES5_S5_.has_recursion, 0
	.set _ZL33flash_attn_stream_k_fixup_uniformILi512ELi2ELi16EEvPfPK15HIP_vector_typeIfLj2EEiiiiiiS1_IjLj3EES5_S5_.has_indirect_call, 0
	.section	.AMDGPU.csdata,"",@progbits
; Kernel info:
; codeLenInByte = 836
; TotalNumSgprs: 30
; NumVgprs: 17
; NumAgprs: 0
; TotalNumVgprs: 17
; ScratchSize: 0
; MemoryBound: 0
; FloatMode: 240
; IeeeMode: 1
; LDSByteSize: 0 bytes/workgroup (compile time only)
; SGPRBlocks: 3
; VGPRBlocks: 2
; NumSGPRsForWavesPerEU: 30
; NumVGPRsForWavesPerEU: 17
; AccumOffset: 20
; Occupancy: 8
; WaveLimiterHint : 0
; COMPUTE_PGM_RSRC2:SCRATCH_EN: 0
; COMPUTE_PGM_RSRC2:USER_SGPR: 2
; COMPUTE_PGM_RSRC2:TRAP_HANDLER: 0
; COMPUTE_PGM_RSRC2:TGID_X_EN: 1
; COMPUTE_PGM_RSRC2:TGID_Y_EN: 1
; COMPUTE_PGM_RSRC2:TGID_Z_EN: 1
; COMPUTE_PGM_RSRC2:TIDIG_COMP_CNT: 0
; COMPUTE_PGM_RSRC3_GFX90A:ACCUM_OFFSET: 4
; COMPUTE_PGM_RSRC3_GFX90A:TG_SPLIT: 0
	.section	.text._ZL33flash_attn_stream_k_fixup_generalILi512ELi2ELi16EEvPfPK15HIP_vector_typeIfLj2EEiiiiS1_IjLj3EES5_S5_S5_,"axG",@progbits,_ZL33flash_attn_stream_k_fixup_generalILi512ELi2ELi16EEvPfPK15HIP_vector_typeIfLj2EEiiiiS1_IjLj3EES5_S5_S5_,comdat
	.globl	_ZL33flash_attn_stream_k_fixup_generalILi512ELi2ELi16EEvPfPK15HIP_vector_typeIfLj2EEiiiiS1_IjLj3EES5_S5_S5_ ; -- Begin function _ZL33flash_attn_stream_k_fixup_generalILi512ELi2ELi16EEvPfPK15HIP_vector_typeIfLj2EEiiiiS1_IjLj3EES5_S5_S5_
	.p2align	8
	.type	_ZL33flash_attn_stream_k_fixup_generalILi512ELi2ELi16EEvPfPK15HIP_vector_typeIfLj2EEiiiiS1_IjLj3EES5_S5_S5_,@function
_ZL33flash_attn_stream_k_fixup_generalILi512ELi2ELi16EEvPfPK15HIP_vector_typeIfLj2EEiiiiS1_IjLj3EES5_S5_S5_: ; @_ZL33flash_attn_stream_k_fixup_generalILi512ELi2ELi16EEvPfPK15HIP_vector_typeIfLj2EEiiiiS1_IjLj3EES5_S5_S5_
; %bb.0:
	s_load_dwordx4 s[8:11], s[0:1], 0x10
	s_load_dword s22, s[0:1], 0x50
	s_mov_b32 s12, 0
	s_waitcnt lgkmcnt(0)
	s_mul_hi_i32 s13, s11, s2
	s_cmp_lg_u64 s[12:13], 0
	s_mul_i32 s5, s11, s2
	s_cbranch_scc0 .LBB12_20
; %bb.1:
	s_add_u32 s6, s22, 0
	s_addc_u32 s7, 0, 0
	s_xor_b64 s[6:7], s[6:7], 0
	v_cvt_f32_u32_e32 v1, s6
	v_cvt_f32_u32_e32 v2, s7
	s_sub_u32 s12, 0, s6
	s_subb_u32 s18, 0, s7
	v_fmamk_f32 v1, v2, 0x4f800000, v1
	v_rcp_f32_e32 v1, v1
	s_nop 0
	v_mul_f32_e32 v1, 0x5f7ffffc, v1
	v_mul_f32_e32 v2, 0x2f800000, v1
	v_trunc_f32_e32 v2, v2
	v_fmamk_f32 v1, v2, 0xcf800000, v1
	v_cvt_u32_f32_e32 v2, v2
	v_cvt_u32_f32_e32 v1, v1
	v_readfirstlane_b32 s19, v2
	v_readfirstlane_b32 s14, v1
	s_mul_i32 s15, s12, s19
	s_mul_hi_u32 s21, s12, s14
	s_mul_i32 s20, s18, s14
	s_add_i32 s15, s21, s15
	s_add_i32 s15, s15, s20
	s_mul_i32 s23, s12, s14
	s_mul_i32 s21, s14, s15
	s_mul_hi_u32 s24, s14, s23
	s_mul_hi_u32 s20, s14, s15
	s_add_u32 s21, s24, s21
	s_addc_u32 s20, 0, s20
	s_mul_hi_u32 s25, s19, s23
	s_mul_i32 s23, s19, s23
	s_add_u32 s21, s21, s23
	s_mul_hi_u32 s24, s19, s15
	s_addc_u32 s20, s20, s25
	s_addc_u32 s21, s24, 0
	s_mul_i32 s15, s19, s15
	s_add_u32 s15, s20, s15
	s_addc_u32 s20, 0, s21
	s_add_u32 s21, s14, s15
	s_cselect_b64 s[14:15], -1, 0
	s_cmp_lg_u64 s[14:15], 0
	s_addc_u32 s19, s19, s20
	s_mul_i32 s14, s12, s19
	s_mul_hi_u32 s15, s12, s21
	s_add_i32 s14, s15, s14
	s_mul_i32 s18, s18, s21
	s_add_i32 s14, s14, s18
	s_mul_i32 s12, s12, s21
	s_mul_hi_u32 s18, s19, s12
	s_mul_i32 s20, s19, s12
	s_mul_i32 s24, s21, s14
	s_mul_hi_u32 s12, s21, s12
	s_mul_hi_u32 s23, s21, s14
	s_add_u32 s12, s12, s24
	s_addc_u32 s23, 0, s23
	s_add_u32 s12, s12, s20
	s_mul_hi_u32 s15, s19, s14
	s_addc_u32 s12, s23, s18
	s_addc_u32 s15, s15, 0
	s_mul_i32 s14, s19, s14
	s_add_u32 s12, s12, s14
	s_addc_u32 s18, 0, s15
	s_add_u32 s20, s21, s12
	s_cselect_b64 s[14:15], -1, 0
	s_cmp_lg_u64 s[14:15], 0
	s_addc_u32 s18, s19, s18
	s_ashr_i32 s14, s13, 31
	s_add_u32 s12, s5, s14
	s_mov_b32 s15, s14
	s_addc_u32 s13, s13, s14
	s_xor_b64 s[12:13], s[12:13], s[14:15]
	s_mul_i32 s21, s12, s18
	s_mul_hi_u32 s23, s12, s20
	s_mul_hi_u32 s19, s12, s18
	s_add_u32 s21, s23, s21
	s_addc_u32 s19, 0, s19
	s_mul_hi_u32 s24, s13, s20
	s_mul_i32 s20, s13, s20
	s_add_u32 s20, s21, s20
	s_mul_hi_u32 s23, s13, s18
	s_addc_u32 s19, s19, s24
	s_addc_u32 s20, s23, 0
	s_mul_i32 s18, s13, s18
	s_add_u32 s23, s19, s18
	s_addc_u32 s24, 0, s20
	s_mul_i32 s18, s6, s24
	s_mul_hi_u32 s19, s6, s23
	s_add_i32 s18, s19, s18
	s_mul_i32 s19, s7, s23
	s_add_i32 s25, s18, s19
	s_sub_i32 s20, s13, s25
	s_mul_i32 s18, s6, s23
	s_sub_u32 s12, s12, s18
	s_cselect_b64 s[18:19], -1, 0
	s_cmp_lg_u64 s[18:19], 0
	s_subb_u32 s26, s20, s7
	s_sub_u32 s27, s12, s6
	s_cselect_b64 s[20:21], -1, 0
	s_cmp_lg_u64 s[20:21], 0
	s_subb_u32 s20, s26, 0
	s_cmp_ge_u32 s20, s7
	s_cselect_b32 s21, -1, 0
	s_cmp_ge_u32 s27, s6
	s_cselect_b32 s26, -1, 0
	s_cmp_eq_u32 s20, s7
	s_cselect_b32 s20, s26, s21
	s_add_u32 s21, s23, 1
	s_addc_u32 s26, s24, 0
	s_add_u32 s27, s23, 2
	s_addc_u32 s28, s24, 0
	s_cmp_lg_u32 s20, 0
	s_cselect_b32 s20, s27, s21
	s_cselect_b32 s21, s28, s26
	s_cmp_lg_u64 s[18:19], 0
	s_subb_u32 s13, s13, s25
	s_cmp_ge_u32 s13, s7
	s_cselect_b32 s18, -1, 0
	s_cmp_ge_u32 s12, s6
	s_cselect_b32 s6, -1, 0
	s_cmp_eq_u32 s13, s7
	s_cselect_b32 s6, s6, s18
	s_cmp_lg_u32 s6, 0
	s_cselect_b32 s7, s21, s24
	s_cselect_b32 s6, s20, s23
	s_xor_b64 s[12:13], s[14:15], 0
	s_xor_b64 s[6:7], s[6:7], s[12:13]
	s_sub_u32 s6, s6, s12
	s_load_dwordx4 s[12:15], s[0:1], 0x44
	s_cbranch_execnz .LBB12_3
.LBB12_2:
	v_cvt_f32_u32_e32 v1, s22
	s_sub_i32 s6, 0, s22
	v_rcp_iflag_f32_e32 v1, v1
	s_nop 0
	v_mul_f32_e32 v1, 0x4f7ffffe, v1
	v_cvt_u32_f32_e32 v1, v1
	s_nop 0
	v_readfirstlane_b32 s7, v1
	s_mul_i32 s6, s6, s7
	s_mul_hi_u32 s6, s7, s6
	s_add_i32 s7, s7, s6
	s_mul_hi_u32 s6, s5, s7
	s_waitcnt lgkmcnt(0)
	s_mul_i32 s15, s6, s22
	s_sub_i32 s5, s5, s15
	s_add_i32 s7, s6, 1
	s_sub_i32 s15, s5, s22
	s_cmp_ge_u32 s5, s22
	s_cselect_b32 s6, s7, s6
	s_cselect_b32 s5, s15, s5
	s_add_i32 s7, s6, 1
	s_cmp_ge_u32 s5, s22
	s_cselect_b32 s6, s7, s6
.LBB12_3:
	s_add_i32 s5, s2, 1
	s_mul_hi_i32 s21, s11, s5
	s_mov_b32 s20, 0
	s_cmp_lg_u64 s[20:21], 0
	s_mul_i32 s5, s11, s5
	s_cbranch_scc0 .LBB12_21
; %bb.4:
	s_add_u32 s16, s22, 0
	s_addc_u32 s17, 0, 0
	s_xor_b64 s[18:19], s[16:17], 0
	v_cvt_f32_u32_e32 v1, s18
	v_cvt_f32_u32_e32 v2, s19
	s_sub_u32 s7, 0, s18
	s_waitcnt lgkmcnt(0)
	s_subb_u32 s15, 0, s19
	v_fmamk_f32 v1, v2, 0x4f800000, v1
	v_rcp_f32_e32 v1, v1
	s_nop 0
	v_mul_f32_e32 v1, 0x5f7ffffc, v1
	v_mul_f32_e32 v2, 0x2f800000, v1
	v_trunc_f32_e32 v2, v2
	v_fmamk_f32 v1, v2, 0xcf800000, v1
	v_cvt_u32_f32_e32 v2, v2
	v_cvt_u32_f32_e32 v1, v1
	v_readfirstlane_b32 s20, v2
	v_readfirstlane_b32 s23, v1
	s_mul_i32 s24, s7, s20
	s_mul_hi_u32 s26, s7, s23
	s_mul_i32 s25, s15, s23
	s_add_i32 s24, s26, s24
	s_add_i32 s24, s24, s25
	s_mul_i32 s27, s7, s23
	s_mul_i32 s26, s23, s24
	s_mul_hi_u32 s28, s23, s27
	s_mul_hi_u32 s25, s23, s24
	s_add_u32 s26, s28, s26
	s_addc_u32 s25, 0, s25
	s_mul_hi_u32 s29, s20, s27
	s_mul_i32 s27, s20, s27
	s_add_u32 s26, s26, s27
	s_mul_hi_u32 s28, s20, s24
	s_addc_u32 s25, s25, s29
	s_addc_u32 s26, s28, 0
	s_mul_i32 s24, s20, s24
	s_add_u32 s24, s25, s24
	s_addc_u32 s26, 0, s26
	s_add_u32 s23, s23, s24
	s_cselect_b64 s[24:25], -1, 0
	s_cmp_lg_u64 s[24:25], 0
	s_addc_u32 s20, s20, s26
	s_mul_i32 s24, s7, s20
	s_mul_hi_u32 s25, s7, s23
	s_add_i32 s24, s25, s24
	s_mul_i32 s15, s15, s23
	s_add_i32 s24, s24, s15
	s_mul_i32 s7, s7, s23
	s_mul_hi_u32 s25, s20, s7
	s_mul_i32 s26, s20, s7
	s_mul_i32 s28, s23, s24
	s_mul_hi_u32 s7, s23, s7
	s_mul_hi_u32 s27, s23, s24
	s_add_u32 s7, s7, s28
	s_addc_u32 s27, 0, s27
	s_add_u32 s7, s7, s26
	s_mul_hi_u32 s15, s20, s24
	s_addc_u32 s7, s27, s25
	s_addc_u32 s15, s15, 0
	s_mul_i32 s24, s20, s24
	s_add_u32 s7, s7, s24
	s_addc_u32 s15, 0, s15
	s_add_u32 s7, s23, s7
	s_cselect_b64 s[24:25], -1, 0
	s_cmp_lg_u64 s[24:25], 0
	s_addc_u32 s15, s20, s15
	s_ashr_i32 s24, s21, 31
	s_add_u32 s20, s5, s24
	s_mov_b32 s25, s24
	s_addc_u32 s21, s21, s24
	s_xor_b64 s[20:21], s[20:21], s[24:25]
	s_mul_i32 s26, s20, s15
	s_mul_hi_u32 s27, s20, s7
	s_mul_hi_u32 s23, s20, s15
	s_add_u32 s26, s27, s26
	s_addc_u32 s23, 0, s23
	s_mul_hi_u32 s28, s21, s7
	s_mul_i32 s7, s21, s7
	s_add_u32 s7, s26, s7
	s_mul_hi_u32 s27, s21, s15
	s_addc_u32 s7, s23, s28
	s_addc_u32 s23, s27, 0
	s_mul_i32 s15, s21, s15
	s_add_u32 s7, s7, s15
	s_addc_u32 s15, 0, s23
	s_mul_i32 s23, s18, s15
	s_mul_hi_u32 s26, s18, s7
	s_add_i32 s23, s26, s23
	s_mul_i32 s26, s19, s7
	s_add_i32 s23, s23, s26
	s_sub_i32 s28, s21, s23
	s_mul_i32 s26, s18, s7
	s_sub_u32 s20, s20, s26
	s_cselect_b64 s[26:27], -1, 0
	s_cmp_lg_u64 s[26:27], 0
	s_subb_u32 s30, s28, s19
	s_sub_u32 s31, s20, s18
	s_cselect_b64 s[28:29], -1, 0
	s_cmp_lg_u64 s[28:29], 0
	s_subb_u32 s28, s30, 0
	s_cmp_ge_u32 s28, s19
	s_cselect_b32 s29, -1, 0
	s_cmp_ge_u32 s31, s18
	s_cselect_b32 s30, -1, 0
	s_cmp_eq_u32 s28, s19
	s_cselect_b32 s28, s30, s29
	s_add_u32 s29, s7, 1
	s_addc_u32 s30, s15, 0
	s_add_u32 s31, s7, 2
	s_addc_u32 s33, s15, 0
	s_cmp_lg_u32 s28, 0
	s_cselect_b32 s28, s31, s29
	s_cselect_b32 s29, s33, s30
	s_cmp_lg_u64 s[26:27], 0
	s_subb_u32 s21, s21, s23
	s_cmp_ge_u32 s21, s19
	s_cselect_b32 s23, -1, 0
	s_cmp_ge_u32 s20, s18
	s_cselect_b32 s18, -1, 0
	s_cmp_eq_u32 s21, s19
	s_cselect_b32 s18, s18, s23
	s_cmp_lg_u32 s18, 0
	s_cselect_b32 s19, s29, s15
	s_cselect_b32 s18, s28, s7
	s_xor_b64 s[20:21], s[24:25], 0
	s_xor_b64 s[18:19], s[18:19], s[20:21]
	s_sub_u32 s18, s18, s20
	s_cbranch_execnz .LBB12_6
.LBB12_5:
	v_cvt_f32_u32_e32 v1, s22
	s_sub_i32 s7, 0, s22
	v_rcp_iflag_f32_e32 v1, v1
	s_nop 0
	v_mul_f32_e32 v1, 0x4f7ffffe, v1
	v_cvt_u32_f32_e32 v1, v1
	s_waitcnt lgkmcnt(0)
	v_readfirstlane_b32 s15, v1
	s_mul_i32 s7, s7, s15
	s_mul_hi_u32 s7, s15, s7
	s_add_i32 s15, s15, s7
	s_mul_hi_u32 s7, s5, s15
	s_mul_i32 s16, s7, s22
	s_sub_i32 s5, s5, s16
	s_add_i32 s15, s7, 1
	s_sub_i32 s16, s5, s22
	s_cmp_ge_u32 s5, s22
	s_cselect_b32 s7, s15, s7
	s_cselect_b32 s5, s16, s5
	s_add_i32 s15, s7, 1
	s_cmp_ge_u32 s5, s22
	s_cselect_b32 s18, s15, s7
.LBB12_6:
	s_cmp_eq_u32 s6, s18
	s_waitcnt lgkmcnt(0)
	s_mul_hi_u32 s5, s6, s12
	s_cselect_b64 s[16:17], -1, 0
	s_add_i32 s5, s5, s6
	s_lshr_b32 s7, s5, s13
	s_mul_i32 s5, s7, s14
	s_cmp_eq_u32 s5, s6
	s_mul_hi_u32 s5, s18, s12
	s_cselect_b64 s[20:21], -1, 0
	s_add_i32 s5, s5, s18
	s_lshr_b32 s5, s5, s13
	s_cmp_eq_u32 s7, s5
	s_mul_i32 s5, s5, s14
	s_cselect_b64 s[24:25], -1, 0
	s_cmp_lg_u32 s5, s18
	s_cselect_b64 s[18:19], -1, 0
	s_and_b64 s[18:19], s[24:25], s[18:19]
	s_or_b64 s[16:17], s[16:17], s[20:21]
	s_or_b64 s[16:17], s[16:17], s[18:19]
	s_and_b64 vcc, exec, s[16:17]
	s_cbranch_vccnz .LBB12_23
; %bb.7:
	s_load_dwordx8 s[24:31], s[0:1], 0x20
	s_load_dword s15, s[0:1], 0x40
	s_waitcnt lgkmcnt(0)
	s_mul_hi_u32 s5, s6, s24
	s_add_i32 s5, s5, s6
	s_lshr_b32 s5, s5, s25
	s_mul_i32 s16, s5, s26
	s_sub_i32 s16, s6, s16
	s_mul_hi_u32 s17, s16, s27
	s_add_i32 s17, s16, s17
	s_lshr_b32 s20, s17, s28
	s_mul_i32 s17, s20, s29
	s_sub_i32 s16, s16, s17
	;; [unrolled: 5-line block ×3, first 2 shown]
	s_mul_hi_u32 s16, s15, s12
	s_add_i32 s15, s15, s16
	s_lshr_b32 s23, s15, s13
	s_lshl_b32 s15, s23, 1
	s_lshl_b32 s21, s17, 4
	s_add_i32 s15, s15, s3
	s_cmp_lt_i32 s15, s8
	s_cselect_b64 s[16:17], -1, 0
	s_add_i32 s15, s21, s4
	s_cmp_lt_i32 s15, s10
	s_cselect_b64 s[18:19], -1, 0
	s_and_b64 s[16:17], s[16:17], s[18:19]
	s_andn2_b64 vcc, exec, s[16:17]
	s_cbranch_vccnz .LBB12_23
; %bb.8:
	s_load_dwordx4 s[16:19], s[0:1], 0x0
	s_mov_b32 s0, 0
	s_lshl_b32 s15, s3, 4
	s_lshl_b32 s24, s22, 7
	s_mov_b32 s25, s0
	s_add_i32 s15, s15, s4
	s_waitcnt lgkmcnt(0)
	v_mov_b32_e32 v2, s16
	v_mov_b32_e32 v3, s17
	s_lshl_b64 s[16:17], s[24:25], 2
	s_add_u32 s16, s18, s16
	s_mul_i32 s1, s5, s8
	s_addc_u32 s17, s19, s17
	s_add_i32 s1, s1, s3
	s_mul_i32 s1, s1, s9
	s_mul_i32 s20, s20, s10
	s_add_i32 s1, s1, s4
	s_add_i32 s1, s1, s20
	s_mul_i32 s5, s9, s23
	s_add_i32 s1, s1, s21
	s_lshl_b32 s5, s5, 10
	s_lshl_b32 s1, s1, 9
	s_add_i32 s5, s5, s1
	v_or_b32_e32 v4, s5, v0
	v_ashrrev_i32_e32 v5, 31, v4
	v_lshl_add_u64 v[2:3], v[4:5], 2, v[2:3]
	global_load_dword v1, v[2:3], off
	v_cvt_f32_u32_e32 v4, s22
	s_lshl_b32 s1, s2, 5
	s_add_i32 s4, s15, s1
	s_ashr_i32 s5, s4, 31
	s_lshl_b64 s[4:5], s[4:5], 3
	v_rcp_iflag_f32_e32 v4, v4
	s_add_u32 s4, s18, s4
	s_addc_u32 s5, s19, s5
	s_load_dwordx2 s[4:5], s[4:5], 0x0
	v_mul_f32_e32 v4, 0x4f7ffffe, v4
	v_cvt_u32_f32_e32 v7, v4
	s_add_i32 s24, s2, -1
	v_lshl_or_b32 v6, s15, 9, v0
	s_waitcnt lgkmcnt(0)
	v_mov_b32_e32 v0, s5
	v_mov_b32_e32 v9, s4
	s_mov_b32 s10, 0x3fb8aa3b
	s_mov_b32 s20, 0xc2ce8ed0
	;; [unrolled: 1-line block ×4, first 2 shown]
	v_mov_b32_e32 v8, 0x7f800000
	s_mul_hi_i32 s1, s24, s11
	s_cmp_lg_u64 s[0:1], 0
	s_mul_i32 s8, s24, s11
	s_cbranch_scc0 .LBB12_19
.LBB12_9:
	s_add_u32 s2, s22, 0
	s_addc_u32 s3, 0, 0
	s_xor_b64 s[2:3], s[2:3], 0
	v_cvt_f32_u32_e32 v4, s2
	v_cvt_f32_u32_e32 v5, s3
	s_sub_u32 s9, 0, s2
	s_subb_u32 s25, 0, s3
	v_fmac_f32_e32 v4, 0x4f800000, v5
	v_rcp_f32_e32 v4, v4
	s_nop 0
	v_mul_f32_e32 v4, 0x5f7ffffc, v4
	v_mul_f32_e32 v5, 0x2f800000, v4
	v_trunc_f32_e32 v5, v5
	v_fmac_f32_e32 v4, 0xcf800000, v5
	v_cvt_u32_f32_e32 v5, v5
	v_cvt_u32_f32_e32 v4, v4
	v_readfirstlane_b32 s26, v5
	v_readfirstlane_b32 s4, v4
	s_mul_i32 s5, s9, s26
	s_mul_hi_u32 s28, s9, s4
	s_mul_i32 s27, s25, s4
	s_add_i32 s5, s28, s5
	s_mul_i32 s29, s9, s4
	s_add_i32 s5, s5, s27
	s_mul_i32 s28, s4, s5
	s_mul_hi_u32 s30, s4, s29
	s_mul_hi_u32 s27, s4, s5
	s_add_u32 s28, s30, s28
	s_addc_u32 s27, 0, s27
	s_mul_hi_u32 s31, s26, s29
	s_mul_i32 s29, s26, s29
	s_add_u32 s28, s28, s29
	s_mul_hi_u32 s30, s26, s5
	s_addc_u32 s27, s27, s31
	s_addc_u32 s28, s30, 0
	s_mul_i32 s5, s26, s5
	s_add_u32 s5, s27, s5
	s_addc_u32 s27, 0, s28
	s_add_u32 s28, s4, s5
	s_cselect_b64 s[4:5], -1, 0
	s_cmp_lg_u64 s[4:5], 0
	s_addc_u32 s26, s26, s27
	s_mul_i32 s4, s9, s26
	s_mul_hi_u32 s5, s9, s28
	s_add_i32 s4, s5, s4
	s_mul_i32 s25, s25, s28
	s_add_i32 s4, s4, s25
	s_mul_i32 s9, s9, s28
	s_mul_hi_u32 s25, s26, s9
	s_mul_i32 s27, s26, s9
	s_mul_i32 s30, s28, s4
	s_mul_hi_u32 s9, s28, s9
	s_mul_hi_u32 s29, s28, s4
	s_add_u32 s9, s9, s30
	s_addc_u32 s29, 0, s29
	s_add_u32 s9, s9, s27
	s_mul_hi_u32 s5, s26, s4
	s_addc_u32 s9, s29, s25
	s_addc_u32 s5, s5, 0
	s_mul_i32 s4, s26, s4
	s_add_u32 s4, s9, s4
	s_addc_u32 s9, 0, s5
	s_add_u32 s25, s28, s4
	s_cselect_b64 s[4:5], -1, 0
	s_cmp_lg_u64 s[4:5], 0
	s_addc_u32 s9, s26, s9
	s_ashr_i32 s4, s1, 31
	s_add_u32 s26, s8, s4
	s_mov_b32 s5, s4
	s_addc_u32 s27, s1, s4
	s_xor_b64 s[26:27], s[26:27], s[4:5]
	s_mul_i32 s28, s26, s9
	s_mul_hi_u32 s29, s26, s25
	s_mul_hi_u32 s1, s26, s9
	s_add_u32 s28, s29, s28
	s_addc_u32 s1, 0, s1
	s_mul_hi_u32 s30, s27, s25
	s_mul_i32 s25, s27, s25
	s_add_u32 s25, s28, s25
	s_mul_hi_u32 s29, s27, s9
	s_addc_u32 s1, s1, s30
	s_addc_u32 s25, s29, 0
	s_mul_i32 s9, s27, s9
	s_add_u32 s1, s1, s9
	s_addc_u32 s9, 0, s25
	s_mul_i32 s25, s2, s9
	s_mul_hi_u32 s28, s2, s1
	s_add_i32 s25, s28, s25
	s_mul_i32 s28, s3, s1
	s_add_i32 s25, s25, s28
	s_sub_i32 s30, s27, s25
	s_mul_i32 s28, s2, s1
	s_sub_u32 s26, s26, s28
	s_cselect_b64 s[28:29], -1, 0
	s_cmp_lg_u64 s[28:29], 0
	s_subb_u32 s33, s30, s3
	s_sub_u32 s34, s26, s2
	s_cselect_b64 s[30:31], -1, 0
	s_cmp_lg_u64 s[30:31], 0
	s_subb_u32 s30, s33, 0
	s_cmp_ge_u32 s30, s3
	s_cselect_b32 s31, -1, 0
	s_cmp_ge_u32 s34, s2
	s_cselect_b32 s33, -1, 0
	s_cmp_eq_u32 s30, s3
	s_cselect_b32 s30, s33, s31
	s_add_u32 s31, s1, 1
	s_addc_u32 s33, s9, 0
	s_add_u32 s34, s1, 2
	s_addc_u32 s35, s9, 0
	s_cmp_lg_u32 s30, 0
	s_cselect_b32 s30, s34, s31
	s_cselect_b32 s31, s35, s33
	s_cmp_lg_u64 s[28:29], 0
	s_subb_u32 s25, s27, s25
	s_cmp_ge_u32 s25, s3
	s_cselect_b32 s27, -1, 0
	s_cmp_ge_u32 s26, s2
	s_cselect_b32 s2, -1, 0
	s_cmp_eq_u32 s25, s3
	s_cselect_b32 s2, s2, s27
	s_cmp_lg_u32 s2, 0
	s_cselect_b32 s3, s31, s9
	s_cselect_b32 s2, s30, s1
	s_xor_b64 s[4:5], s[4:5], 0
	s_xor_b64 s[2:3], s[2:3], s[4:5]
	s_sub_u32 s4, s2, s4
	s_cbranch_execnz .LBB12_11
.LBB12_10:
	s_sub_i32 s1, 0, s22
	v_readfirstlane_b32 s2, v7
	s_mul_i32 s1, s1, s2
	s_mul_hi_u32 s1, s2, s1
	s_add_i32 s2, s2, s1
	s_mul_hi_u32 s1, s8, s2
	s_mul_i32 s3, s1, s22
	s_sub_i32 s3, s8, s3
	s_add_i32 s2, s1, 1
	s_sub_i32 s4, s3, s22
	s_cmp_ge_u32 s3, s22
	s_cselect_b32 s1, s2, s1
	s_cselect_b32 s3, s4, s3
	s_add_i32 s2, s1, 1
	s_cmp_ge_u32 s3, s22
	s_cselect_b32 s4, s2, s1
.LBB12_11:
	s_cmp_lg_u32 s6, s4
	s_cbranch_scc0 .LBB12_15
; %bb.12:
	s_add_i32 s1, s24, s22
	s_lshl_b32 s1, s1, 5
	s_add_i32 s2, s1, s15
	s_mov_b32 s3, s0
	s_lshl_b64 s[2:3], s[2:3], 3
	s_add_u32 s8, s18, s2
	s_mul_hi_u32 s1, s4, s12
	s_addc_u32 s9, s19, s3
	s_add_i32 s1, s1, s4
	s_lshr_b32 s1, s1, s13
	s_mul_i32 s2, s1, s14
	s_cmp_eq_u32 s2, s4
	s_cselect_b64 s[2:3], -1, 0
	s_cmp_lt_u32 s1, s7
	s_cselect_b64 s[26:27], -1, 0
	s_or_b64 s[26:27], s[26:27], s[2:3]
	s_mov_b64 s[2:3], -1
	s_and_b64 vcc, exec, s[26:27]
	s_mov_b32 s1, s24
	s_mov_b32 s25, s6
	s_cbranch_vccnz .LBB12_14
; %bb.13:
	s_add_i32 s1, s24, -1
	s_mov_b64 s[2:3], 0
	s_mov_b32 s25, s4
.LBB12_14:
	v_lshl_add_u32 v4, s24, 14, v6
	v_ashrrev_i32_e32 v5, 31, v4
	v_lshl_add_u64 v[4:5], v[4:5], 2, s[16:17]
	global_load_dword v5, v[4:5], off
	s_load_dwordx2 s[4:5], s[8:9], 0x0
	v_max_f32_e32 v4, v9, v9
	s_waitcnt lgkmcnt(0)
	v_max_f32_e64 v10, s4, s4
	v_max_f32_e32 v10, v4, v10
	v_sub_f32_e32 v11, v9, v10
	v_sub_f32_e32 v13, s4, v10
	v_mul_f32_e32 v4, 0x3fb8aa3b, v11
	v_mul_f32_e32 v12, 0x3fb8aa3b, v13
	v_fma_f32 v14, v11, s10, -v4
	v_rndne_f32_e32 v15, v4
	v_fma_f32 v16, v13, s10, -v12
	v_rndne_f32_e32 v17, v12
	v_fmac_f32_e32 v14, 0x32a5705f, v11
	v_sub_f32_e32 v4, v4, v15
	v_fmac_f32_e32 v16, 0x32a5705f, v13
	v_sub_f32_e32 v12, v12, v17
	v_add_f32_e32 v4, v4, v14
	v_cvt_i32_f32_e32 v15, v15
	v_add_f32_e32 v12, v12, v16
	v_exp_f32_e32 v14, v4
	v_cvt_i32_f32_e32 v17, v17
	v_exp_f32_e32 v12, v12
	v_cmp_ngt_f32_e32 vcc, s20, v11
	v_ldexp_f32 v14, v14, v15
	v_mov_b32_e32 v4, s5
	v_ldexp_f32 v12, v12, v17
	v_cndmask_b32_e32 v14, 0, v14, vcc
	v_cmp_ngt_f32_e32 vcc, s20, v13
	s_nop 1
	v_cndmask_b32_e32 v12, 0, v12, vcc
	v_cmp_nlt_f32_e32 vcc, s21, v11
	s_nop 1
	v_cndmask_b32_e32 v14, v8, v14, vcc
	v_cmp_nlt_f32_e32 vcc, s21, v13
	s_nop 1
	v_cndmask_b32_e32 v15, v8, v12, vcc
	v_cmp_le_f32_e32 vcc, s23, v11
	s_nop 1
	v_cndmask_b32_e32 v12, 0, v14, vcc
	v_cmp_le_f32_e32 vcc, s23, v13
	s_nop 1
	v_cndmask_b32_e32 v14, 0, v15, vcc
	s_waitcnt vmcnt(0)
	v_pk_mul_f32 v[4:5], v[4:5], v[14:15] op_sel_hi:[1,0]
	s_nop 0
	v_pk_fma_f32 v[4:5], v[0:1], v[12:13], v[4:5] op_sel_hi:[1,0,1]
	s_cbranch_execz .LBB12_16
	s_branch .LBB12_17
.LBB12_15:
                                        ; implicit-def: $vgpr4_vgpr5
                                        ; implicit-def: $sgpr2_sgpr3
                                        ; implicit-def: $vgpr10
                                        ; implicit-def: $sgpr1
                                        ; implicit-def: $sgpr25
.LBB12_16:
	s_add_i32 s1, s24, -1
	s_mov_b64 s[2:3], 0
	s_mov_b32 s25, s6
	v_mov_b32_e32 v10, v9
	s_waitcnt vmcnt(0)
	v_mov_b64_e32 v[4:5], v[0:1]
.LBB12_17:
	s_andn2_b64 vcc, exec, s[2:3]
	s_cbranch_vccz .LBB12_22
; %bb.18:
	s_mov_b32 s6, s25
	s_mov_b32 s24, s1
	v_mov_b32_e32 v9, v10
	s_waitcnt vmcnt(0)
	v_mov_b64_e32 v[0:1], v[4:5]
	s_mul_hi_i32 s1, s24, s11
	s_cmp_lg_u64 s[0:1], 0
	s_mul_i32 s8, s24, s11
	s_cbranch_scc1 .LBB12_9
.LBB12_19:
                                        ; implicit-def: $sgpr4_sgpr5
	s_branch .LBB12_10
.LBB12_20:
                                        ; implicit-def: $sgpr6_sgpr7
	s_load_dwordx4 s[12:15], s[0:1], 0x44
	s_branch .LBB12_2
.LBB12_21:
                                        ; implicit-def: $sgpr18_sgpr19
	s_branch .LBB12_5
.LBB12_22:
	v_div_scale_f32 v0, s[0:1], v4, v4, v5
	s_waitcnt vmcnt(0)
	v_rcp_f32_e32 v1, v0
	v_div_scale_f32 v6, vcc, v5, v4, v5
	v_fma_f32 v7, -v0, v1, 1.0
	v_fmac_f32_e32 v1, v7, v1
	v_mul_f32_e32 v7, v6, v1
	v_fma_f32 v8, -v0, v7, v6
	v_fmac_f32_e32 v7, v8, v1
	v_fma_f32 v0, -v0, v7, v6
	v_div_fmas_f32 v0, v0, v1, v7
	v_div_fixup_f32 v0, v0, v4, v5
	global_store_dword v[2:3], v0, off
.LBB12_23:
	s_endpgm
	.section	.rodata,"a",@progbits
	.p2align	6, 0x0
	.amdhsa_kernel _ZL33flash_attn_stream_k_fixup_generalILi512ELi2ELi16EEvPfPK15HIP_vector_typeIfLj2EEiiiiS1_IjLj3EES5_S5_S5_
		.amdhsa_group_segment_fixed_size 0
		.amdhsa_private_segment_fixed_size 0
		.amdhsa_kernarg_size 336
		.amdhsa_user_sgpr_count 2
		.amdhsa_user_sgpr_dispatch_ptr 0
		.amdhsa_user_sgpr_queue_ptr 0
		.amdhsa_user_sgpr_kernarg_segment_ptr 1
		.amdhsa_user_sgpr_dispatch_id 0
		.amdhsa_user_sgpr_kernarg_preload_length 0
		.amdhsa_user_sgpr_kernarg_preload_offset 0
		.amdhsa_user_sgpr_private_segment_size 0
		.amdhsa_uses_dynamic_stack 0
		.amdhsa_enable_private_segment 0
		.amdhsa_system_sgpr_workgroup_id_x 1
		.amdhsa_system_sgpr_workgroup_id_y 1
		.amdhsa_system_sgpr_workgroup_id_z 1
		.amdhsa_system_sgpr_workgroup_info 0
		.amdhsa_system_vgpr_workitem_id 0
		.amdhsa_next_free_vgpr 18
		.amdhsa_next_free_sgpr 36
		.amdhsa_accum_offset 20
		.amdhsa_reserve_vcc 1
		.amdhsa_float_round_mode_32 0
		.amdhsa_float_round_mode_16_64 0
		.amdhsa_float_denorm_mode_32 3
		.amdhsa_float_denorm_mode_16_64 3
		.amdhsa_dx10_clamp 1
		.amdhsa_ieee_mode 1
		.amdhsa_fp16_overflow 0
		.amdhsa_tg_split 0
		.amdhsa_exception_fp_ieee_invalid_op 0
		.amdhsa_exception_fp_denorm_src 0
		.amdhsa_exception_fp_ieee_div_zero 0
		.amdhsa_exception_fp_ieee_overflow 0
		.amdhsa_exception_fp_ieee_underflow 0
		.amdhsa_exception_fp_ieee_inexact 0
		.amdhsa_exception_int_div_zero 0
	.end_amdhsa_kernel
	.section	.text._ZL33flash_attn_stream_k_fixup_generalILi512ELi2ELi16EEvPfPK15HIP_vector_typeIfLj2EEiiiiS1_IjLj3EES5_S5_S5_,"axG",@progbits,_ZL33flash_attn_stream_k_fixup_generalILi512ELi2ELi16EEvPfPK15HIP_vector_typeIfLj2EEiiiiS1_IjLj3EES5_S5_S5_,comdat
.Lfunc_end12:
	.size	_ZL33flash_attn_stream_k_fixup_generalILi512ELi2ELi16EEvPfPK15HIP_vector_typeIfLj2EEiiiiS1_IjLj3EES5_S5_S5_, .Lfunc_end12-_ZL33flash_attn_stream_k_fixup_generalILi512ELi2ELi16EEvPfPK15HIP_vector_typeIfLj2EEiiiiS1_IjLj3EES5_S5_S5_
                                        ; -- End function
	.set _ZL33flash_attn_stream_k_fixup_generalILi512ELi2ELi16EEvPfPK15HIP_vector_typeIfLj2EEiiiiS1_IjLj3EES5_S5_S5_.num_vgpr, 18
	.set _ZL33flash_attn_stream_k_fixup_generalILi512ELi2ELi16EEvPfPK15HIP_vector_typeIfLj2EEiiiiS1_IjLj3EES5_S5_S5_.num_agpr, 0
	.set _ZL33flash_attn_stream_k_fixup_generalILi512ELi2ELi16EEvPfPK15HIP_vector_typeIfLj2EEiiiiS1_IjLj3EES5_S5_S5_.numbered_sgpr, 36
	.set _ZL33flash_attn_stream_k_fixup_generalILi512ELi2ELi16EEvPfPK15HIP_vector_typeIfLj2EEiiiiS1_IjLj3EES5_S5_S5_.num_named_barrier, 0
	.set _ZL33flash_attn_stream_k_fixup_generalILi512ELi2ELi16EEvPfPK15HIP_vector_typeIfLj2EEiiiiS1_IjLj3EES5_S5_S5_.private_seg_size, 0
	.set _ZL33flash_attn_stream_k_fixup_generalILi512ELi2ELi16EEvPfPK15HIP_vector_typeIfLj2EEiiiiS1_IjLj3EES5_S5_S5_.uses_vcc, 1
	.set _ZL33flash_attn_stream_k_fixup_generalILi512ELi2ELi16EEvPfPK15HIP_vector_typeIfLj2EEiiiiS1_IjLj3EES5_S5_S5_.uses_flat_scratch, 0
	.set _ZL33flash_attn_stream_k_fixup_generalILi512ELi2ELi16EEvPfPK15HIP_vector_typeIfLj2EEiiiiS1_IjLj3EES5_S5_S5_.has_dyn_sized_stack, 0
	.set _ZL33flash_attn_stream_k_fixup_generalILi512ELi2ELi16EEvPfPK15HIP_vector_typeIfLj2EEiiiiS1_IjLj3EES5_S5_S5_.has_recursion, 0
	.set _ZL33flash_attn_stream_k_fixup_generalILi512ELi2ELi16EEvPfPK15HIP_vector_typeIfLj2EEiiiiS1_IjLj3EES5_S5_S5_.has_indirect_call, 0
	.section	.AMDGPU.csdata,"",@progbits
; Kernel info:
; codeLenInByte = 2940
; TotalNumSgprs: 42
; NumVgprs: 18
; NumAgprs: 0
; TotalNumVgprs: 18
; ScratchSize: 0
; MemoryBound: 0
; FloatMode: 240
; IeeeMode: 1
; LDSByteSize: 0 bytes/workgroup (compile time only)
; SGPRBlocks: 5
; VGPRBlocks: 2
; NumSGPRsForWavesPerEU: 42
; NumVGPRsForWavesPerEU: 18
; AccumOffset: 20
; Occupancy: 8
; WaveLimiterHint : 0
; COMPUTE_PGM_RSRC2:SCRATCH_EN: 0
; COMPUTE_PGM_RSRC2:USER_SGPR: 2
; COMPUTE_PGM_RSRC2:TRAP_HANDLER: 0
; COMPUTE_PGM_RSRC2:TGID_X_EN: 1
; COMPUTE_PGM_RSRC2:TGID_Y_EN: 1
; COMPUTE_PGM_RSRC2:TGID_Z_EN: 1
; COMPUTE_PGM_RSRC2:TIDIG_COMP_CNT: 0
; COMPUTE_PGM_RSRC3_GFX90A:ACCUM_OFFSET: 4
; COMPUTE_PGM_RSRC3_GFX90A:TG_SPLIT: 0
	.section	.text._ZL26flash_attn_combine_resultsILi512EEvPKfPK15HIP_vector_typeIfLj2EEPfi,"axG",@progbits,_ZL26flash_attn_combine_resultsILi512EEvPKfPK15HIP_vector_typeIfLj2EEPfi,comdat
	.globl	_ZL26flash_attn_combine_resultsILi512EEvPKfPK15HIP_vector_typeIfLj2EEPfi ; -- Begin function _ZL26flash_attn_combine_resultsILi512EEvPKfPK15HIP_vector_typeIfLj2EEPfi
	.p2align	8
	.type	_ZL26flash_attn_combine_resultsILi512EEvPKfPK15HIP_vector_typeIfLj2EEPfi,@function
_ZL26flash_attn_combine_resultsILi512EEvPKfPK15HIP_vector_typeIfLj2EEPfi: ; @_ZL26flash_attn_combine_resultsILi512EEvPKfPK15HIP_vector_typeIfLj2EEPfi
; %bb.0:
	s_load_dwordx2 s[6:7], s[0:1], 0x20
	s_load_dword s19, s[0:1], 0x18
	s_load_dwordx4 s[8:11], s[0:1], 0x0
	s_load_dwordx2 s[14:15], s[0:1], 0x10
	s_waitcnt lgkmcnt(0)
	s_mul_i32 s0, s6, s4
	s_add_i32 s0, s0, s2
	s_mul_i32 s18, s0, s7
	s_add_i32 s18, s18, s3
	s_lshl_b32 s20, s19, 1
	s_mul_i32 s2, s18, s19
	v_cmp_gt_i32_e32 vcc, s20, v0
	s_and_saveexec_b64 s[0:1], vcc
	s_cbranch_execz .LBB13_13
; %bb.1:
	v_xad_u32 v1, v0, -1, s20
	s_movk_i32 s4, 0x1ff
	s_ashr_i32 s3, s2, 31
	v_cmp_lt_u32_e32 vcc, s4, v1
	s_mov_b64 s[6:7], -1
	v_mov_b32_e32 v2, v0
	s_and_saveexec_b64 s[4:5], vcc
	s_cbranch_execz .LBB13_10
; %bb.2:
	v_lshrrev_b32_e32 v6, 9, v1
	s_lshl_b64 s[6:7], s[2:3], 3
	v_add_u32_e32 v2, -1, v6
	s_add_u32 s6, s10, s6
	v_or_b32_e32 v1, 0x200, v0
	v_lshrrev_b32_e32 v3, 1, v2
	s_addc_u32 s7, s11, s7
	s_mov_b32 s21, 0
	v_add_u32_e32 v7, 1, v3
	v_cmp_lt_u32_e32 vcc, 13, v2
	v_mov_b32_e32 v4, 0
	v_mov_b64_e32 v[2:3], v[0:1]
	s_and_saveexec_b64 s[12:13], vcc
	s_cbranch_execz .LBB13_6
; %bb.3:
	v_and_b32_e32 v8, -8, v7
	v_lshl_add_u32 v9, v0, 2, 0
	s_mov_b64 s[16:17], 0
	v_mov_b32_e32 v5, 0
	v_mov_b64_e32 v[2:3], v[0:1]
.LBB13_4:                               ; =>This Inner Loop Header: Depth=1
	v_mov_b32_e32 v4, v2
	v_lshl_add_u64 v[24:25], v[4:5], 2, s[6:7]
	v_mov_b32_e32 v4, v3
	v_add_u32_e32 v10, 0x400, v3
	v_mov_b32_e32 v11, v5
	v_lshl_add_u64 v[26:27], v[4:5], 2, s[6:7]
	v_add_u32_e32 v4, 0x400, v2
	v_lshl_add_u64 v[10:11], v[10:11], 2, s[6:7]
	global_load_dword v1, v[24:25], off
	v_lshl_add_u64 v[24:25], v[4:5], 2, s[6:7]
	v_add_u32_e32 v4, 0x800, v2
	global_load_dword v28, v[26:27], off
	global_load_dword v29, v[24:25], off
	;; [unrolled: 1-line block ×3, first 2 shown]
	v_lshl_add_u64 v[10:11], v[4:5], 2, s[6:7]
	v_add_u32_e32 v4, 0xc00, v2
	v_add_u32_e32 v12, 0x800, v3
	v_mov_b32_e32 v13, v5
	v_add_u32_e32 v14, 0xc00, v3
	v_mov_b32_e32 v15, v5
	v_lshl_add_u64 v[24:25], v[4:5], 2, s[6:7]
	v_add_u32_e32 v4, 0x1000, v2
	v_lshl_add_u64 v[12:13], v[12:13], 2, s[6:7]
	v_lshl_add_u64 v[14:15], v[14:15], 2, s[6:7]
	global_load_dword v26, v[10:11], off
	global_load_dword v27, v[12:13], off
	;; [unrolled: 1-line block ×4, first 2 shown]
	v_lshl_add_u64 v[10:11], v[4:5], 2, s[6:7]
	v_add_u32_e32 v4, 0x1400, v2
	v_add_u32_e32 v16, 0x1000, v3
	v_mov_b32_e32 v17, v5
	v_add_u32_e32 v18, 0x1400, v3
	v_mov_b32_e32 v19, v5
	v_lshl_add_u64 v[12:13], v[4:5], 2, s[6:7]
	v_add_u32_e32 v4, 0x1800, v2
	v_add_u32_e32 v20, 0x1800, v3
	v_mov_b32_e32 v21, v5
	v_add_u32_e32 v22, 0x1c00, v3
	v_mov_b32_e32 v23, v5
	v_lshl_add_u64 v[16:17], v[16:17], 2, s[6:7]
	v_lshl_add_u64 v[18:19], v[18:19], 2, s[6:7]
	global_load_dword v14, v[10:11], off
	global_load_dword v15, v[16:17], off
	;; [unrolled: 1-line block ×4, first 2 shown]
	v_lshl_add_u64 v[10:11], v[4:5], 2, s[6:7]
	v_add_u32_e32 v4, 0x1c00, v2
	v_lshl_add_u64 v[20:21], v[20:21], 2, s[6:7]
	v_lshl_add_u64 v[22:23], v[22:23], 2, s[6:7]
	;; [unrolled: 1-line block ×3, first 2 shown]
	global_load_dword v16, v[10:11], off
	global_load_dword v17, v[20:21], off
	global_load_dword v18, v[12:13], off
	global_load_dword v19, v[22:23], off
	v_add_u32_e32 v8, -8, v8
	s_add_i32 s21, s21, 16
	v_cmp_eq_u32_e32 vcc, 0, v8
	v_add_u32_e32 v3, 0x2000, v3
	v_mov_b32_e32 v4, s21
	s_or_b64 s[16:17], vcc, s[16:17]
	v_add_u32_e32 v2, 0x2000, v2
	s_waitcnt vmcnt(14)
	ds_write2st64_b32 v9, v1, v28 offset1:8
	s_waitcnt vmcnt(12)
	ds_write2st64_b32 v9, v29, v30 offset0:16 offset1:24
	s_waitcnt vmcnt(10)
	ds_write2st64_b32 v9, v26, v27 offset0:32 offset1:40
	;; [unrolled: 2-line block ×7, first 2 shown]
	v_add_u32_e32 v9, 0x8000, v9
	s_andn2_b64 exec, exec, s[16:17]
	s_cbranch_execnz .LBB13_4
; %bb.5:
	s_or_b64 exec, exec, s[16:17]
.LBB13_6:
	s_or_b64 exec, exec, s[12:13]
	v_and_b32_e32 v1, 7, v7
	v_cmp_ne_u32_e32 vcc, 0, v1
	s_and_saveexec_b64 s[12:13], vcc
	s_cbranch_execz .LBB13_9
; %bb.7:
	v_lshlrev_b32_e32 v5, 2, v0
	v_lshl_or_b32 v4, v4, 11, v5
	v_add_u32_e32 v7, 0, v4
	s_mov_b64 s[16:17], 0
	v_mov_b32_e32 v5, 0
.LBB13_8:                               ; =>This Inner Loop Header: Depth=1
	v_mov_b32_e32 v4, v2
	v_lshl_add_u64 v[8:9], v[4:5], 2, s[6:7]
	v_mov_b32_e32 v4, v3
	v_lshl_add_u64 v[10:11], v[4:5], 2, s[6:7]
	global_load_dword v4, v[8:9], off
	global_load_dword v12, v[10:11], off
	v_add_u32_e32 v1, -1, v1
	v_cmp_eq_u32_e32 vcc, 0, v1
	v_add_u32_e32 v2, 0x400, v2
	v_add_u32_e32 v3, 0x400, v3
	s_or_b64 s[16:17], vcc, s[16:17]
	s_waitcnt vmcnt(0)
	ds_write2st64_b32 v7, v4, v12 offset1:8
	v_add_u32_e32 v7, 0x1000, v7
	s_andn2_b64 exec, exec, s[16:17]
	s_cbranch_execnz .LBB13_8
.LBB13_9:
	s_or_b64 exec, exec, s[12:13]
	v_add_u32_e32 v1, 1, v6
	v_and_b32_e32 v3, 0xfffffe, v1
	v_cmp_ne_u32_e32 vcc, v1, v3
	v_lshl_or_b32 v2, v3, 9, v0
	s_orn2_b64 s[6:7], vcc, exec
.LBB13_10:
	s_or_b64 exec, exec, s[4:5]
	s_and_b64 exec, exec, s[6:7]
	s_cbranch_execz .LBB13_13
; %bb.11:
	s_lshl_b64 s[4:5], s[2:3], 3
	s_add_u32 s4, s10, s4
	v_mov_b32_e32 v3, 0
	s_addc_u32 s5, s11, s5
	v_lshl_add_u64 v[4:5], v[2:3], 2, s[4:5]
	v_lshl_add_u32 v1, v2, 2, 0
	s_mov_b64 s[4:5], 0
	s_mov_b64 s[6:7], 0x800
.LBB13_12:                              ; =>This Inner Loop Header: Depth=1
	global_load_dword v3, v[4:5], off
	v_add_u32_e32 v2, 0x200, v2
	v_cmp_le_i32_e32 vcc, s20, v2
	v_lshl_add_u64 v[4:5], v[4:5], 0, s[6:7]
	s_or_b64 s[4:5], vcc, s[4:5]
	s_waitcnt vmcnt(0)
	ds_write_b32 v1, v3
	v_add_u32_e32 v1, 0x800, v1
	s_andn2_b64 exec, exec, s[4:5]
	s_cbranch_execnz .LBB13_12
.LBB13_13:
	s_or_b64 exec, exec, s[0:1]
	v_mov_b32_e32 v1, 0
	s_waitcnt lgkmcnt(0)
	s_barrier
	ds_read_b32 v1, v1
	s_cmp_lt_i32 s19, 2
	s_cbranch_scc1 .LBB13_21
; %bb.14:
	s_cmp_eq_u32 s19, 2
	s_cbranch_scc1 .LBB13_18
; %bb.15:
	s_add_i32 s3, s19, -1
	s_and_b32 s4, s3, -2
	s_add_i32 s6, 0, 8
	s_mov_b32 s5, 2
	s_waitcnt lgkmcnt(0)
	v_mov_b32_e32 v4, v1
.LBB13_16:                              ; =>This Inner Loop Header: Depth=1
	v_mov_b32_e32 v2, v1
	v_mov_b32_e32 v1, s6
	;; [unrolled: 1-line block ×3, first 2 shown]
	ds_read2_b32 v[4:5], v1 offset1:2
	s_cmp_lg_u32 s4, s5
	s_cselect_b64 s[10:11], -1, 0
	v_max_f32_e32 v1, v3, v3
	v_max_f32_e32 v6, v2, v2
	s_waitcnt lgkmcnt(0)
	v_cmp_u_f32_e32 vcc, v5, v5
	v_max_f32_e32 v7, v5, v5
	v_max_f32_e32 v8, v4, v4
	v_cndmask_b32_e64 v5, 0, 1, vcc
	v_cmp_u_f32_e32 vcc, v4, v4
	v_readfirstlane_b32 s0, v5
	s_lshl_b32 s0, s0, 1
	v_cndmask_b32_e64 v9, 0, 1, vcc
	v_max_f32_e32 v4, v1, v7
	v_readfirstlane_b32 s1, v9
	s_or_b32 s0, s1, s0
	s_and_b32 s7, s0, 3
	s_cmp_lg_u32 s7, 0
	s_cselect_b64 s[0:1], -1, 0
	s_cmp_eq_u32 s7, 0
	s_cselect_b64 s[12:13], -1, 0
	s_and_b64 s[10:11], s[12:13], s[10:11]
	v_max_f32_e32 v1, v6, v8
	s_add_i32 s5, s5, 2
	s_add_i32 s6, s6, 16
	s_and_b64 vcc, exec, s[10:11]
	s_cbranch_vccnz .LBB13_16
; %bb.17:
	s_add_i32 s5, s5, -4
	s_and_b64 s[6:7], s[0:1], exec
	s_cselect_b32 s5, s5, s3
	s_or_b32 s5, s5, 1
	v_cndmask_b32_e64 v1, v1, v2, s[0:1]
	v_cndmask_b32_e64 v2, v4, v3, s[0:1]
	s_cmp_lg_u32 s3, s4
	v_max_f32_e32 v2, v2, v2
	v_max_f32_e32 v1, v1, v1
	s_cselect_b64 s[6:7], -1, 0
	v_max_f32_e32 v1, v1, v2
	s_or_b64 s[0:1], s[6:7], s[0:1]
	s_and_b64 vcc, exec, s[0:1]
	s_cbranch_vccnz .LBB13_19
	s_branch .LBB13_21
.LBB13_18:
	s_mov_b32 s5, 1
	s_cbranch_execz .LBB13_21
.LBB13_19:
	s_lshl_b32 s1, s5, 3
	s_sub_i32 s0, s19, s5
	s_add_i32 s1, s1, 0
.LBB13_20:                              ; =>This Inner Loop Header: Depth=1
	v_mov_b32_e32 v2, s1
	ds_read_b32 v2, v2
	s_waitcnt lgkmcnt(1)
	v_max_f32_e32 v1, v1, v1
	s_add_i32 s0, s0, -1
	s_add_i32 s1, s1, 8
	s_cmp_eq_u32 s0, 0
	s_waitcnt lgkmcnt(0)
	v_max_f32_e32 v2, v2, v2
	v_max_f32_e32 v1, v1, v2
	s_cbranch_scc0 .LBB13_20
.LBB13_21:
	s_cmp_lt_i32 s19, 1
	s_cbranch_scc1 .LBB13_26
; %bb.22:
	s_lshl_b32 s0, s2, 9
	s_ashr_i32 s1, s0, 31
	s_lshl_b64 s[0:1], s[0:1], 2
	s_add_u32 s16, s8, s0
	s_addc_u32 s17, s9, s1
	s_cmp_lt_u32 s19, 8
	s_cbranch_scc1 .LBB13_27
; %bb.23:
	v_mov_b32_e32 v7, 0
	s_and_b32 s20, s19, 0x7ffffff8
	v_or_b32_e32 v4, 0xe00, v0
	s_mov_b32 s21, 0
	s_mov_b32 s22, 0x3fb8aa3b
	;; [unrolled: 1-line block ×4, first 2 shown]
	v_mov_b32_e32 v8, 0x7f800000
	s_mov_b32 s25, 0
	v_mov_b32_e32 v2, v7
	v_mov_b32_e32 v3, v7
.LBB13_24:                              ; =>This Inner Loop Header: Depth=1
	v_add_u32_e32 v6, 0xfffff200, v4
	v_lshl_add_u64 v[26:27], v[6:7], 2, s[16:17]
	v_add_u32_e32 v6, 0xfffff400, v4
	v_mov_b32_e32 v9, s21
	v_lshl_add_u64 v[30:31], v[6:7], 2, s[16:17]
	v_add_u32_e32 v6, 0xfffff600, v4
	ds_read2_b64 v[10:13], v9 offset1:1
	ds_read2_b64 v[14:17], v9 offset0:2 offset1:3
	ds_read2_b64 v[18:21], v9 offset0:4 offset1:5
	;; [unrolled: 1-line block ×3, first 2 shown]
	global_load_dword v33, v[26:27], off
	global_load_dword v35, v[30:31], off
	v_lshl_add_u64 v[26:27], v[6:7], 2, s[16:17]
	v_add_u32_e32 v6, 0xfffff800, v4
	v_lshl_add_u64 v[30:31], v[6:7], 2, s[16:17]
	v_add_u32_e32 v6, 0xfffffa00, v4
	global_load_dword v37, v[26:27], off
	global_load_dword v39, v[30:31], off
	v_lshl_add_u64 v[26:27], v[6:7], 2, s[16:17]
	v_add_u32_e32 v6, 0xfffffc00, v4
	s_waitcnt lgkmcnt(3)
	v_mov_b32_e32 v32, v11
	v_sub_f32_e32 v9, v12, v1
	v_mov_b32_e32 v34, v13
	global_load_dword v11, v[26:27], off
	v_lshl_add_u64 v[12:13], v[6:7], 2, s[16:17]
	s_waitcnt lgkmcnt(2)
	v_mov_b32_e32 v36, v15
	v_add_u32_e32 v6, 0xfffffe00, v4
	global_load_dword v15, v[12:13], off
	v_mov_b32_e32 v5, v7
	v_lshl_add_u64 v[12:13], v[6:7], 2, s[16:17]
	v_lshl_add_u64 v[28:29], v[4:5], 2, s[16:17]
	v_sub_f32_e32 v5, v10, v1
	v_mov_b32_e32 v38, v17
	s_waitcnt lgkmcnt(1)
	v_mov_b32_e32 v10, v19
	global_load_dword v17, v[12:13], off
	global_load_dword v19, v[28:29], off
	v_sub_f32_e32 v30, v14, v1
	v_sub_f32_e32 v31, v16, v1
	;; [unrolled: 1-line block ×3, first 2 shown]
	v_mov_b32_e32 v14, v21
	s_waitcnt lgkmcnt(0)
	v_sub_f32_e32 v21, v22, v1
	v_mov_b32_e32 v16, v23
	v_sub_f32_e32 v22, v24, v1
	v_mul_f32_e32 v23, 0x3fb8aa3b, v5
	v_mov_b32_e32 v18, v25
	v_mul_f32_e32 v24, 0x3fb8aa3b, v9
	v_mul_f32_e32 v25, 0x3fb8aa3b, v30
	;; [unrolled: 1-line block ×5, first 2 shown]
	v_fma_f32 v43, v5, s22, -v23
	v_rndne_f32_e32 v44, v23
	v_sub_f32_e32 v20, v20, v1
	v_fma_f32 v45, v9, s22, -v24
	v_rndne_f32_e32 v46, v24
	v_fma_f32 v47, v30, s22, -v25
	v_rndne_f32_e32 v48, v25
	v_fma_f32 v51, v40, s22, -v27
	v_rndne_f32_e32 v52, v27
	v_fma_f32 v55, v21, s22, -v42
	v_rndne_f32_e32 v56, v42
	v_fma_f32 v57, v22, s22, -v6
	v_rndne_f32_e32 v58, v6
	v_fmac_f32_e32 v43, 0x32a5705f, v5
	v_sub_f32_e32 v12, v23, v44
	v_mul_f32_e32 v26, 0x3fb8aa3b, v31
	v_mul_f32_e32 v41, 0x3fb8aa3b, v20
	v_fmac_f32_e32 v45, 0x32a5705f, v9
	v_sub_f32_e32 v23, v24, v46
	v_fmac_f32_e32 v47, 0x32a5705f, v30
	v_sub_f32_e32 v25, v25, v48
	;; [unrolled: 2-line block ×5, first 2 shown]
	v_add_f32_e32 v12, v12, v43
	v_fma_f32 v49, v31, s22, -v26
	v_rndne_f32_e32 v50, v26
	v_fma_f32 v53, v20, s22, -v41
	v_rndne_f32_e32 v54, v41
	v_cvt_i32_f32_e32 v13, v44
	v_add_f32_e32 v23, v23, v45
	v_add_f32_e32 v25, v25, v47
	;; [unrolled: 1-line block ×5, first 2 shown]
	v_exp_f32_e32 v12, v12
	v_cvt_i32_f32_e32 v24, v46
	v_cvt_i32_f32_e32 v28, v48
	v_fmac_f32_e32 v49, 0x32a5705f, v31
	v_sub_f32_e32 v26, v26, v50
	v_cvt_i32_f32_e32 v29, v50
	v_cvt_i32_f32_e32 v44, v52
	v_fmac_f32_e32 v53, 0x32a5705f, v20
	v_sub_f32_e32 v41, v41, v54
	v_cvt_i32_f32_e32 v48, v56
	v_cvt_i32_f32_e32 v50, v58
	v_exp_f32_e32 v23, v23
	v_exp_f32_e32 v25, v25
	;; [unrolled: 1-line block ×5, first 2 shown]
	v_add_f32_e32 v26, v26, v49
	v_add_f32_e32 v41, v41, v53
	v_cvt_i32_f32_e32 v46, v54
	v_exp_f32_e32 v26, v26
	v_exp_f32_e32 v41, v41
	v_ldexp_f32 v12, v12, v13
	v_cmp_ngt_f32_e64 s[12:13], s23, v5
	v_ldexp_f32 v13, v23, v24
	v_cmp_ngt_f32_e32 vcc, s23, v9
	v_ldexp_f32 v23, v25, v28
	v_ldexp_f32 v25, v27, v44
	;; [unrolled: 1-line block ×3, first 2 shown]
	v_cmp_ngt_f32_e64 s[8:9], s23, v21
	v_ldexp_f32 v6, v6, v50
	v_cmp_ngt_f32_e64 s[10:11], s23, v22
	v_cndmask_b32_e64 v12, 0, v12, s[12:13]
	v_cmp_nlt_f32_e64 s[12:13], s24, v5
	v_cmp_ngt_f32_e64 s[0:1], s23, v30
	v_cndmask_b32_e32 v13, 0, v13, vcc
	v_cmp_nlt_f32_e32 vcc, s24, v9
	v_cndmask_b32_e64 v27, 0, v27, s[8:9]
	v_cmp_nlt_f32_e64 s[8:9], s24, v21
	v_cndmask_b32_e64 v21, 0, v6, s[10:11]
	v_cndmask_b32_e64 v6, v8, v12, s[12:13]
	v_ldexp_f32 v24, v26, v29
	v_cmp_ngt_f32_e64 s[2:3], s23, v31
	v_cmp_ngt_f32_e64 s[4:5], s23, v40
	v_ldexp_f32 v26, v41, v46
	v_cmp_ngt_f32_e64 s[6:7], s23, v20
	v_cndmask_b32_e64 v9, 0, v23, s[0:1]
	v_cmp_nlt_f32_e64 s[0:1], s24, v30
	v_cndmask_b32_e32 v12, v8, v13, vcc
	s_waitcnt vmcnt(7)
	v_pk_fma_f32 v[2:3], v[6:7], v[32:33], v[2:3] op_sel_hi:[0,1,1]
	v_cndmask_b32_e64 v23, 0, v24, s[2:3]
	v_cmp_nlt_f32_e64 s[2:3], s24, v31
	v_cndmask_b32_e64 v24, 0, v25, s[4:5]
	v_cndmask_b32_e64 v25, 0, v26, s[6:7]
	v_cmp_nlt_f32_e64 s[6:7], s24, v20
	v_cndmask_b32_e64 v20, v8, v9, s[0:1]
	s_waitcnt vmcnt(6)
	v_pk_fma_f32 v[2:3], v[12:13], v[34:35], v[2:3] op_sel_hi:[0,1,1]
	v_cmp_nlt_f32_e64 s[4:5], s24, v40
	v_cmp_nlt_f32_e64 s[10:11], s24, v22
	v_cndmask_b32_e64 v22, v8, v23, s[2:3]
	s_waitcnt vmcnt(5)
	v_pk_fma_f32 v[2:3], v[20:21], v[36:37], v[2:3] op_sel_hi:[0,1,1]
	v_cndmask_b32_e64 v24, v8, v24, s[4:5]
	s_waitcnt vmcnt(4)
	v_pk_fma_f32 v[2:3], v[22:23], v[38:39], v[2:3] op_sel_hi:[0,1,1]
	;; [unrolled: 3-line block ×4, first 2 shown]
	s_add_i32 s25, s25, 8
	s_add_i32 s21, s21, 64
	v_cndmask_b32_e64 v30, v8, v21, s[10:11]
	s_waitcnt vmcnt(1)
	v_pk_fma_f32 v[2:3], v[28:29], v[16:17], v[2:3] op_sel_hi:[0,1,1]
	s_cmp_eq_u32 s20, s25
	v_add_u32_e32 v4, 0x1000, v4
	s_waitcnt vmcnt(0)
	v_pk_fma_f32 v[2:3], v[30:31], v[18:19], v[2:3] op_sel_hi:[0,1,1]
	s_cbranch_scc0 .LBB13_24
; %bb.25:
	s_and_b32 s0, s19, 7
	s_cmp_eq_u32 s0, 0
	s_cbranch_scc0 .LBB13_28
	s_branch .LBB13_30
.LBB13_26:
	s_waitcnt lgkmcnt(0)
	v_mov_b32_e32 v1, 0x7fc00000
	s_branch .LBB13_31
.LBB13_27:
	v_mov_b32_e32 v2, 0
	s_mov_b32 s20, 0
	v_mov_b32_e32 v3, v2
	s_and_b32 s0, s19, 7
	s_cmp_eq_u32 s0, 0
	s_cbranch_scc1 .LBB13_30
.LBB13_28:
	s_lshl_b32 s1, s20, 3
	v_lshl_or_b32 v4, s20, 9, v0
	s_add_i32 s1, s1, 0
	s_mov_b32 s2, 0x3fb8aa3b
	s_mov_b32 s3, 0xc2ce8ed0
	s_mov_b32 s4, 0x42b17218
	v_mov_b32_e32 v6, 0x7f800000
	v_mov_b32_e32 v5, 0
.LBB13_29:                              ; =>This Inner Loop Header: Depth=1
	v_lshl_add_u64 v[8:9], v[4:5], 2, s[16:17]
	global_load_dword v9, v[8:9], off
	v_mov_b32_e32 v7, s1
	ds_read_b64 v[10:11], v7
	s_add_i32 s1, s1, 8
	s_add_i32 s0, s0, -1
	v_add_u32_e32 v4, 0x200, v4
	s_cmp_lg_u32 s0, 0
	s_waitcnt lgkmcnt(0)
	v_sub_f32_e32 v7, v10, v1
	v_mul_f32_e32 v8, 0x3fb8aa3b, v7
	v_fma_f32 v10, v7, s2, -v8
	v_rndne_f32_e32 v12, v8
	v_fmac_f32_e32 v10, 0x32a5705f, v7
	v_sub_f32_e32 v8, v8, v12
	v_add_f32_e32 v8, v8, v10
	v_cvt_i32_f32_e32 v12, v12
	v_exp_f32_e32 v10, v8
	v_cmp_ngt_f32_e32 vcc, s3, v7
	v_mov_b32_e32 v8, v11
	v_ldexp_f32 v10, v10, v12
	v_cndmask_b32_e32 v10, 0, v10, vcc
	v_cmp_nlt_f32_e32 vcc, s4, v7
	s_nop 1
	v_cndmask_b32_e32 v10, v6, v10, vcc
	s_waitcnt vmcnt(0)
	v_pk_fma_f32 v[2:3], v[10:11], v[8:9], v[2:3] op_sel_hi:[0,1,1]
	s_cbranch_scc1 .LBB13_29
.LBB13_30:
	s_waitcnt lgkmcnt(0)
	v_div_scale_f32 v1, s[0:1], v2, v2, v3
	v_rcp_f32_e32 v4, v1
	v_div_scale_f32 v5, vcc, v3, v2, v3
	v_fma_f32 v6, -v1, v4, 1.0
	v_fmac_f32_e32 v4, v6, v4
	v_mul_f32_e32 v6, v5, v4
	v_fma_f32 v7, -v1, v6, v5
	v_fmac_f32_e32 v6, v7, v4
	v_fma_f32 v1, -v1, v6, v5
	v_div_fmas_f32 v1, v1, v4, v6
	v_div_fixup_f32 v1, v1, v2, v3
.LBB13_31:
	s_lshl_b32 s0, s18, 9
	s_ashr_i32 s1, s0, 31
	s_lshl_b64 s[0:1], s[0:1], 2
	s_add_u32 s0, s14, s0
	s_addc_u32 s1, s15, s1
	v_lshlrev_b32_e32 v0, 2, v0
	global_store_dword v0, v1, s[0:1]
	s_endpgm
	.section	.rodata,"a",@progbits
	.p2align	6, 0x0
	.amdhsa_kernel _ZL26flash_attn_combine_resultsILi512EEvPKfPK15HIP_vector_typeIfLj2EEPfi
		.amdhsa_group_segment_fixed_size 0
		.amdhsa_private_segment_fixed_size 0
		.amdhsa_kernarg_size 288
		.amdhsa_user_sgpr_count 2
		.amdhsa_user_sgpr_dispatch_ptr 0
		.amdhsa_user_sgpr_queue_ptr 0
		.amdhsa_user_sgpr_kernarg_segment_ptr 1
		.amdhsa_user_sgpr_dispatch_id 0
		.amdhsa_user_sgpr_kernarg_preload_length 0
		.amdhsa_user_sgpr_kernarg_preload_offset 0
		.amdhsa_user_sgpr_private_segment_size 0
		.amdhsa_uses_dynamic_stack 0
		.amdhsa_enable_private_segment 0
		.amdhsa_system_sgpr_workgroup_id_x 1
		.amdhsa_system_sgpr_workgroup_id_y 1
		.amdhsa_system_sgpr_workgroup_id_z 1
		.amdhsa_system_sgpr_workgroup_info 0
		.amdhsa_system_vgpr_workitem_id 0
		.amdhsa_next_free_vgpr 59
		.amdhsa_next_free_sgpr 26
		.amdhsa_accum_offset 60
		.amdhsa_reserve_vcc 1
		.amdhsa_float_round_mode_32 0
		.amdhsa_float_round_mode_16_64 0
		.amdhsa_float_denorm_mode_32 3
		.amdhsa_float_denorm_mode_16_64 3
		.amdhsa_dx10_clamp 1
		.amdhsa_ieee_mode 1
		.amdhsa_fp16_overflow 0
		.amdhsa_tg_split 0
		.amdhsa_exception_fp_ieee_invalid_op 0
		.amdhsa_exception_fp_denorm_src 0
		.amdhsa_exception_fp_ieee_div_zero 0
		.amdhsa_exception_fp_ieee_overflow 0
		.amdhsa_exception_fp_ieee_underflow 0
		.amdhsa_exception_fp_ieee_inexact 0
		.amdhsa_exception_int_div_zero 0
	.end_amdhsa_kernel
	.section	.text._ZL26flash_attn_combine_resultsILi512EEvPKfPK15HIP_vector_typeIfLj2EEPfi,"axG",@progbits,_ZL26flash_attn_combine_resultsILi512EEvPKfPK15HIP_vector_typeIfLj2EEPfi,comdat
.Lfunc_end13:
	.size	_ZL26flash_attn_combine_resultsILi512EEvPKfPK15HIP_vector_typeIfLj2EEPfi, .Lfunc_end13-_ZL26flash_attn_combine_resultsILi512EEvPKfPK15HIP_vector_typeIfLj2EEPfi
                                        ; -- End function
	.set _ZL26flash_attn_combine_resultsILi512EEvPKfPK15HIP_vector_typeIfLj2EEPfi.num_vgpr, 59
	.set _ZL26flash_attn_combine_resultsILi512EEvPKfPK15HIP_vector_typeIfLj2EEPfi.num_agpr, 0
	.set _ZL26flash_attn_combine_resultsILi512EEvPKfPK15HIP_vector_typeIfLj2EEPfi.numbered_sgpr, 26
	.set _ZL26flash_attn_combine_resultsILi512EEvPKfPK15HIP_vector_typeIfLj2EEPfi.num_named_barrier, 0
	.set _ZL26flash_attn_combine_resultsILi512EEvPKfPK15HIP_vector_typeIfLj2EEPfi.private_seg_size, 0
	.set _ZL26flash_attn_combine_resultsILi512EEvPKfPK15HIP_vector_typeIfLj2EEPfi.uses_vcc, 1
	.set _ZL26flash_attn_combine_resultsILi512EEvPKfPK15HIP_vector_typeIfLj2EEPfi.uses_flat_scratch, 0
	.set _ZL26flash_attn_combine_resultsILi512EEvPKfPK15HIP_vector_typeIfLj2EEPfi.has_dyn_sized_stack, 0
	.set _ZL26flash_attn_combine_resultsILi512EEvPKfPK15HIP_vector_typeIfLj2EEPfi.has_recursion, 0
	.set _ZL26flash_attn_combine_resultsILi512EEvPKfPK15HIP_vector_typeIfLj2EEPfi.has_indirect_call, 0
	.section	.AMDGPU.csdata,"",@progbits
; Kernel info:
; codeLenInByte = 2924
; TotalNumSgprs: 32
; NumVgprs: 59
; NumAgprs: 0
; TotalNumVgprs: 59
; ScratchSize: 0
; MemoryBound: 0
; FloatMode: 240
; IeeeMode: 1
; LDSByteSize: 0 bytes/workgroup (compile time only)
; SGPRBlocks: 3
; VGPRBlocks: 7
; NumSGPRsForWavesPerEU: 32
; NumVGPRsForWavesPerEU: 59
; AccumOffset: 60
; Occupancy: 8
; WaveLimiterHint : 0
; COMPUTE_PGM_RSRC2:SCRATCH_EN: 0
; COMPUTE_PGM_RSRC2:USER_SGPR: 2
; COMPUTE_PGM_RSRC2:TRAP_HANDLER: 0
; COMPUTE_PGM_RSRC2:TGID_X_EN: 1
; COMPUTE_PGM_RSRC2:TGID_Y_EN: 1
; COMPUTE_PGM_RSRC2:TGID_Z_EN: 1
; COMPUTE_PGM_RSRC2:TIDIG_COMP_CNT: 0
; COMPUTE_PGM_RSRC3_GFX90A:ACCUM_OFFSET: 14
; COMPUTE_PGM_RSRC3_GFX90A:TG_SPLIT: 0
	.text
	.p2alignl 6, 3212836864
	.fill 256, 4, 3212836864
	.section	.AMDGPU.gpr_maximums,"",@progbits
	.set amdgpu.max_num_vgpr, 52
	.set amdgpu.max_num_agpr, 0
	.set amdgpu.max_num_sgpr, 34
	.text
	.type	.str.3,@object                  ; @.str.3
	.section	.rodata.str1.1,"aMS",@progbits,1
.str.3:
	.asciz	"/root/src/amdgpu-assembly/repos/ggml-org__llama.cpp/ggml/src/ggml-cuda/template-instances/../fattn-mma-f16.cuh"
	.size	.str.3, 111

	.type	__FUNCTION__._ZL18flash_attn_ext_f16ILi192ELi128ELi2ELi16ELb1ELb0EEvPKcS1_S1_S1_S1_PKiPfP15HIP_vector_typeIfLj2EEffffjfiS5_IjLj3EEiiiiiiiiiiiliiliiiiil,@object ; @__FUNCTION__._ZL18flash_attn_ext_f16ILi192ELi128ELi2ELi16ELb1ELb0EEvPKcS1_S1_S1_S1_PKiPfP15HIP_vector_typeIfLj2EEffffjfiS5_IjLj3EEiiiiiiiiiiiliiliiiiil
__FUNCTION__._ZL18flash_attn_ext_f16ILi192ELi128ELi2ELi16ELb1ELb0EEvPKcS1_S1_S1_S1_PKiPfP15HIP_vector_typeIfLj2EEffffjfiS5_IjLj3EEiiiiiiiiiiiliiliiiiil:
	.asciz	"flash_attn_ext_f16"
	.size	__FUNCTION__._ZL18flash_attn_ext_f16ILi192ELi128ELi2ELi16ELb1ELb0EEvPKcS1_S1_S1_S1_PKiPfP15HIP_vector_typeIfLj2EEffffjfiS5_IjLj3EEiiiiiiiiiiiliiliiiiil, 19

	.type	.str.5,@object                  ; @.str.5
.str.5:
	.asciz	"%s:%d: ERROR: HIP kernel %s has no device code compatible with HIP arch %d.\n"
	.size	.str.5, 77

	.type	__hip_cuid_1aa606ae544579ac,@object ; @__hip_cuid_1aa606ae544579ac
	.section	.bss,"aw",@nobits
	.globl	__hip_cuid_1aa606ae544579ac
__hip_cuid_1aa606ae544579ac:
	.byte	0                               ; 0x0
	.size	__hip_cuid_1aa606ae544579ac, 1

	.ident	"AMD clang version 22.0.0git (https://github.com/RadeonOpenCompute/llvm-project roc-7.2.4 26084 f58b06dce1f9c15707c5f808fd002e18c2accf7e)"
	.section	".note.GNU-stack","",@progbits
	.addrsig
	.addrsig_sym __hip_cuid_1aa606ae544579ac
	.amdgpu_metadata
---
amdhsa.kernels:
  - .agpr_count:     32
    .args:
      - .address_space:  global
        .offset:         0
        .size:           8
        .value_kind:     global_buffer
      - .address_space:  global
        .offset:         8
        .size:           8
        .value_kind:     global_buffer
      - .address_space:  global
        .offset:         16
        .size:           8
        .value_kind:     global_buffer
      - .address_space:  global
        .offset:         24
        .size:           8
        .value_kind:     global_buffer
      - .address_space:  global
        .offset:         32
        .size:           8
        .value_kind:     global_buffer
      - .address_space:  global
        .offset:         40
        .size:           8
        .value_kind:     global_buffer
      - .address_space:  global
        .offset:         48
        .size:           8
        .value_kind:     global_buffer
      - .address_space:  global
        .offset:         56
        .size:           8
        .value_kind:     global_buffer
      - .offset:         64
        .size:           4
        .value_kind:     by_value
      - .offset:         68
        .size:           4
        .value_kind:     by_value
      - .offset:         72
        .size:           4
        .value_kind:     by_value
      - .offset:         76
        .size:           4
        .value_kind:     by_value
      - .offset:         80
        .size:           4
        .value_kind:     by_value
      - .offset:         84
        .size:           4
        .value_kind:     by_value
      - .offset:         88
        .size:           4
        .value_kind:     by_value
      - .offset:         92
        .size:           12
        .value_kind:     by_value
      - .offset:         104
        .size:           4
        .value_kind:     by_value
      - .offset:         108
        .size:           4
        .value_kind:     by_value
      - .offset:         112
        .size:           4
        .value_kind:     by_value
      - .offset:         116
        .size:           4
        .value_kind:     by_value
      - .offset:         120
        .size:           4
        .value_kind:     by_value
      - .offset:         124
        .size:           4
        .value_kind:     by_value
      - .offset:         128
        .size:           4
        .value_kind:     by_value
      - .offset:         132
        .size:           4
        .value_kind:     by_value
      - .offset:         136
        .size:           4
        .value_kind:     by_value
      - .offset:         140
        .size:           4
        .value_kind:     by_value
      - .offset:         144
        .size:           4
        .value_kind:     by_value
      - .offset:         152
        .size:           8
        .value_kind:     by_value
      - .offset:         160
        .size:           4
        .value_kind:     by_value
      - .offset:         164
        .size:           4
        .value_kind:     by_value
      - .offset:         168
        .size:           8
        .value_kind:     by_value
      - .offset:         176
        .size:           4
        .value_kind:     by_value
      - .offset:         180
        .size:           4
        .value_kind:     by_value
      - .offset:         184
        .size:           4
        .value_kind:     by_value
      - .offset:         188
        .size:           4
        .value_kind:     by_value
      - .offset:         192
        .size:           4
        .value_kind:     by_value
      - .offset:         200
        .size:           8
        .value_kind:     by_value
      - .offset:         208
        .size:           4
        .value_kind:     hidden_block_count_x
      - .offset:         212
        .size:           4
        .value_kind:     hidden_block_count_y
      - .offset:         216
        .size:           4
        .value_kind:     hidden_block_count_z
      - .offset:         220
        .size:           2
        .value_kind:     hidden_group_size_x
      - .offset:         222
        .size:           2
        .value_kind:     hidden_group_size_y
      - .offset:         224
        .size:           2
        .value_kind:     hidden_group_size_z
      - .offset:         226
        .size:           2
        .value_kind:     hidden_remainder_x
      - .offset:         228
        .size:           2
        .value_kind:     hidden_remainder_y
      - .offset:         230
        .size:           2
        .value_kind:     hidden_remainder_z
      - .offset:         248
        .size:           8
        .value_kind:     hidden_global_offset_x
      - .offset:         256
        .size:           8
        .value_kind:     hidden_global_offset_y
      - .offset:         264
        .size:           8
        .value_kind:     hidden_global_offset_z
      - .offset:         272
        .size:           2
        .value_kind:     hidden_grid_dims
      - .offset:         328
        .size:           4
        .value_kind:     hidden_dynamic_lds_size
    .group_segment_fixed_size: 0
    .kernarg_segment_align: 8
    .kernarg_segment_size: 464
    .language:       OpenCL C
    .language_version:
      - 2
      - 0
    .max_flat_workgroup_size: 256
    .name:           _ZL18flash_attn_ext_f16ILi192ELi128ELi2ELi16ELb0ELb0EEvPKcS1_S1_S1_S1_PKiPfP15HIP_vector_typeIfLj2EEffffjfiS5_IjLj3EEiiiiiiiiiiiliiliiiiil
    .private_segment_fixed_size: 0
    .sgpr_count:     105
    .sgpr_spill_count: 0
    .symbol:         _ZL18flash_attn_ext_f16ILi192ELi128ELi2ELi16ELb0ELb0EEvPKcS1_S1_S1_S1_PKiPfP15HIP_vector_typeIfLj2EEffffjfiS5_IjLj3EEiiiiiiiiiiiliiliiiiil.kd
    .uniform_work_group_size: 1
    .uses_dynamic_stack: false
    .vgpr_count:     288
    .vgpr_spill_count: 0
    .wavefront_size: 64
  - .agpr_count:     0
    .args:
      - .address_space:  global
        .offset:         0
        .size:           8
        .value_kind:     global_buffer
      - .address_space:  global
        .offset:         8
        .size:           8
        .value_kind:     global_buffer
      - .address_space:  global
        .offset:         16
        .size:           8
        .value_kind:     global_buffer
      - .address_space:  global
        .offset:         24
        .size:           8
        .value_kind:     global_buffer
      - .address_space:  global
        .offset:         32
        .size:           8
        .value_kind:     global_buffer
      - .address_space:  global
        .offset:         40
        .size:           8
        .value_kind:     global_buffer
      - .address_space:  global
        .offset:         48
        .size:           8
        .value_kind:     global_buffer
      - .address_space:  global
        .offset:         56
        .size:           8
        .value_kind:     global_buffer
      - .offset:         64
        .size:           4
        .value_kind:     by_value
      - .offset:         68
        .size:           4
        .value_kind:     by_value
      - .offset:         72
        .size:           4
        .value_kind:     by_value
      - .offset:         76
        .size:           4
        .value_kind:     by_value
      - .offset:         80
        .size:           4
        .value_kind:     by_value
      - .offset:         84
        .size:           4
        .value_kind:     by_value
      - .offset:         88
        .size:           4
        .value_kind:     by_value
      - .offset:         92
        .size:           12
        .value_kind:     by_value
      - .offset:         104
        .size:           4
        .value_kind:     by_value
      - .offset:         108
        .size:           4
        .value_kind:     by_value
      - .offset:         112
        .size:           4
        .value_kind:     by_value
      - .offset:         116
        .size:           4
        .value_kind:     by_value
      - .offset:         120
        .size:           4
        .value_kind:     by_value
      - .offset:         124
        .size:           4
        .value_kind:     by_value
      - .offset:         128
        .size:           4
        .value_kind:     by_value
      - .offset:         132
        .size:           4
        .value_kind:     by_value
      - .offset:         136
        .size:           4
        .value_kind:     by_value
      - .offset:         140
        .size:           4
        .value_kind:     by_value
      - .offset:         144
        .size:           4
        .value_kind:     by_value
      - .offset:         152
        .size:           8
        .value_kind:     by_value
      - .offset:         160
        .size:           4
        .value_kind:     by_value
      - .offset:         164
        .size:           4
        .value_kind:     by_value
      - .offset:         168
        .size:           8
        .value_kind:     by_value
      - .offset:         176
        .size:           4
        .value_kind:     by_value
      - .offset:         180
        .size:           4
        .value_kind:     by_value
      - .offset:         184
        .size:           4
        .value_kind:     by_value
      - .offset:         188
        .size:           4
        .value_kind:     by_value
      - .offset:         192
        .size:           4
        .value_kind:     by_value
      - .offset:         200
        .size:           8
        .value_kind:     by_value
      - .offset:         208
        .size:           4
        .value_kind:     hidden_block_count_x
      - .offset:         212
        .size:           4
        .value_kind:     hidden_block_count_y
      - .offset:         216
        .size:           4
        .value_kind:     hidden_block_count_z
      - .offset:         220
        .size:           2
        .value_kind:     hidden_group_size_x
      - .offset:         222
        .size:           2
        .value_kind:     hidden_group_size_y
      - .offset:         224
        .size:           2
        .value_kind:     hidden_group_size_z
      - .offset:         226
        .size:           2
        .value_kind:     hidden_remainder_x
      - .offset:         228
        .size:           2
        .value_kind:     hidden_remainder_y
      - .offset:         230
        .size:           2
        .value_kind:     hidden_remainder_z
      - .offset:         248
        .size:           8
        .value_kind:     hidden_global_offset_x
      - .offset:         256
        .size:           8
        .value_kind:     hidden_global_offset_y
      - .offset:         264
        .size:           8
        .value_kind:     hidden_global_offset_z
      - .offset:         272
        .size:           2
        .value_kind:     hidden_grid_dims
      - .offset:         288
        .size:           8
        .value_kind:     hidden_hostcall_buffer
    .group_segment_fixed_size: 0
    .kernarg_segment_align: 8
    .kernarg_segment_size: 464
    .language:       OpenCL C
    .language_version:
      - 2
      - 0
    .max_flat_workgroup_size: 256
    .name:           _ZL18flash_attn_ext_f16ILi192ELi128ELi2ELi16ELb1ELb0EEvPKcS1_S1_S1_S1_PKiPfP15HIP_vector_typeIfLj2EEffffjfiS5_IjLj3EEiiiiiiiiiiiliiliiiiil
    .private_segment_fixed_size: 16
    .sgpr_count:     40
    .sgpr_spill_count: 0
    .symbol:         _ZL18flash_attn_ext_f16ILi192ELi128ELi2ELi16ELb1ELb0EEvPKcS1_S1_S1_S1_PKiPfP15HIP_vector_typeIfLj2EEffffjfiS5_IjLj3EEiiiiiiiiiiiliiliiiiil.kd
    .uniform_work_group_size: 1
    .uses_dynamic_stack: false
    .vgpr_count:     52
    .vgpr_spill_count: 0
    .wavefront_size: 64
  - .agpr_count:     0
    .args:
      - .actual_access:  read_only
        .address_space:  global
        .offset:         0
        .size:           8
        .value_kind:     global_buffer
      - .actual_access:  write_only
        .address_space:  global
        .offset:         8
        .size:           8
        .value_kind:     global_buffer
      - .offset:         16
        .size:           4
        .value_kind:     by_value
      - .offset:         20
        .size:           4
        .value_kind:     by_value
      - .offset:         24
        .size:           4
        .value_kind:     by_value
      - .offset:         32
        .size:           4
        .value_kind:     hidden_block_count_x
      - .offset:         36
        .size:           4
        .value_kind:     hidden_block_count_y
      - .offset:         40
        .size:           4
        .value_kind:     hidden_block_count_z
      - .offset:         44
        .size:           2
        .value_kind:     hidden_group_size_x
      - .offset:         46
        .size:           2
        .value_kind:     hidden_group_size_y
      - .offset:         48
        .size:           2
        .value_kind:     hidden_group_size_z
      - .offset:         50
        .size:           2
        .value_kind:     hidden_remainder_x
      - .offset:         52
        .size:           2
        .value_kind:     hidden_remainder_y
      - .offset:         54
        .size:           2
        .value_kind:     hidden_remainder_z
      - .offset:         72
        .size:           8
        .value_kind:     hidden_global_offset_x
      - .offset:         80
        .size:           8
        .value_kind:     hidden_global_offset_y
      - .offset:         88
        .size:           8
        .value_kind:     hidden_global_offset_z
      - .offset:         96
        .size:           2
        .value_kind:     hidden_grid_dims
    .group_segment_fixed_size: 128
    .kernarg_segment_align: 8
    .kernarg_segment_size: 288
    .language:       OpenCL C
    .language_version:
      - 2
      - 0
    .max_flat_workgroup_size: 128
    .name:           _ZL25flash_attn_mask_to_KV_maxILi2EEvPK7__half2Piiii
    .private_segment_fixed_size: 0
    .sgpr_count:     28
    .sgpr_spill_count: 0
    .symbol:         _ZL25flash_attn_mask_to_KV_maxILi2EEvPK7__half2Piiii.kd
    .uniform_work_group_size: 1
    .uses_dynamic_stack: false
    .vgpr_count:     17
    .vgpr_spill_count: 0
    .wavefront_size: 64
  - .agpr_count:     0
    .args:
      - .address_space:  global
        .offset:         0
        .size:           8
        .value_kind:     global_buffer
      - .address_space:  global
        .offset:         8
        .size:           8
        .value_kind:     global_buffer
      - .offset:         16
        .size:           4
        .value_kind:     by_value
      - .offset:         20
        .size:           4
        .value_kind:     by_value
      - .offset:         24
        .size:           4
        .value_kind:     by_value
      - .offset:         28
        .size:           4
        .value_kind:     by_value
      - .offset:         32
        .size:           4
        .value_kind:     by_value
      - .offset:         36
        .size:           4
        .value_kind:     by_value
      - .offset:         40
        .size:           12
        .value_kind:     by_value
      - .offset:         52
        .size:           12
        .value_kind:     by_value
      - .offset:         64
        .size:           12
        .value_kind:     by_value
    .group_segment_fixed_size: 0
    .kernarg_segment_align: 8
    .kernarg_segment_size: 76
    .language:       OpenCL C
    .language_version:
      - 2
      - 0
    .max_flat_workgroup_size: 128
    .name:           _ZL33flash_attn_stream_k_fixup_uniformILi128ELi2ELi16EEvPfPK15HIP_vector_typeIfLj2EEiiiiiiS1_IjLj3EES5_S5_
    .private_segment_fixed_size: 0
    .sgpr_count:     30
    .sgpr_spill_count: 0
    .symbol:         _ZL33flash_attn_stream_k_fixup_uniformILi128ELi2ELi16EEvPfPK15HIP_vector_typeIfLj2EEiiiiiiS1_IjLj3EES5_S5_.kd
    .uniform_work_group_size: 1
    .uses_dynamic_stack: false
    .vgpr_count:     17
    .vgpr_spill_count: 0
    .wavefront_size: 64
  - .agpr_count:     0
    .args:
      - .address_space:  global
        .offset:         0
        .size:           8
        .value_kind:     global_buffer
      - .address_space:  global
        .offset:         8
        .size:           8
        .value_kind:     global_buffer
      - .offset:         16
        .size:           4
        .value_kind:     by_value
      - .offset:         20
        .size:           4
        .value_kind:     by_value
      - .offset:         24
        .size:           4
        .value_kind:     by_value
      - .offset:         28
        .size:           4
        .value_kind:     by_value
      - .offset:         32
        .size:           12
        .value_kind:     by_value
      - .offset:         44
        .size:           12
        .value_kind:     by_value
      - .offset:         56
        .size:           12
        .value_kind:     by_value
      - .offset:         68
        .size:           12
        .value_kind:     by_value
      - .offset:         80
        .size:           4
        .value_kind:     hidden_block_count_x
      - .offset:         84
        .size:           4
        .value_kind:     hidden_block_count_y
      - .offset:         88
        .size:           4
        .value_kind:     hidden_block_count_z
      - .offset:         92
        .size:           2
        .value_kind:     hidden_group_size_x
      - .offset:         94
        .size:           2
        .value_kind:     hidden_group_size_y
      - .offset:         96
        .size:           2
        .value_kind:     hidden_group_size_z
      - .offset:         98
        .size:           2
        .value_kind:     hidden_remainder_x
      - .offset:         100
        .size:           2
        .value_kind:     hidden_remainder_y
      - .offset:         102
        .size:           2
        .value_kind:     hidden_remainder_z
      - .offset:         120
        .size:           8
        .value_kind:     hidden_global_offset_x
      - .offset:         128
        .size:           8
        .value_kind:     hidden_global_offset_y
      - .offset:         136
        .size:           8
        .value_kind:     hidden_global_offset_z
      - .offset:         144
        .size:           2
        .value_kind:     hidden_grid_dims
    .group_segment_fixed_size: 0
    .kernarg_segment_align: 8
    .kernarg_segment_size: 336
    .language:       OpenCL C
    .language_version:
      - 2
      - 0
    .max_flat_workgroup_size: 128
    .name:           _ZL33flash_attn_stream_k_fixup_generalILi128ELi2ELi16EEvPfPK15HIP_vector_typeIfLj2EEiiiiS1_IjLj3EES5_S5_S5_
    .private_segment_fixed_size: 0
    .sgpr_count:     42
    .sgpr_spill_count: 0
    .symbol:         _ZL33flash_attn_stream_k_fixup_generalILi128ELi2ELi16EEvPfPK15HIP_vector_typeIfLj2EEiiiiS1_IjLj3EES5_S5_S5_.kd
    .uniform_work_group_size: 1
    .uses_dynamic_stack: false
    .vgpr_count:     18
    .vgpr_spill_count: 0
    .wavefront_size: 64
  - .agpr_count:     0
    .args:
      - .address_space:  global
        .offset:         0
        .size:           8
        .value_kind:     global_buffer
      - .address_space:  global
        .offset:         8
        .size:           8
        .value_kind:     global_buffer
      - .address_space:  global
        .offset:         16
        .size:           8
        .value_kind:     global_buffer
      - .offset:         24
        .size:           4
        .value_kind:     by_value
      - .offset:         32
        .size:           4
        .value_kind:     hidden_block_count_x
      - .offset:         36
        .size:           4
        .value_kind:     hidden_block_count_y
      - .offset:         40
        .size:           4
        .value_kind:     hidden_block_count_z
      - .offset:         44
        .size:           2
        .value_kind:     hidden_group_size_x
      - .offset:         46
        .size:           2
        .value_kind:     hidden_group_size_y
      - .offset:         48
        .size:           2
        .value_kind:     hidden_group_size_z
      - .offset:         50
        .size:           2
        .value_kind:     hidden_remainder_x
      - .offset:         52
        .size:           2
        .value_kind:     hidden_remainder_y
      - .offset:         54
        .size:           2
        .value_kind:     hidden_remainder_z
      - .offset:         72
        .size:           8
        .value_kind:     hidden_global_offset_x
      - .offset:         80
        .size:           8
        .value_kind:     hidden_global_offset_y
      - .offset:         88
        .size:           8
        .value_kind:     hidden_global_offset_z
      - .offset:         96
        .size:           2
        .value_kind:     hidden_grid_dims
      - .offset:         152
        .size:           4
        .value_kind:     hidden_dynamic_lds_size
    .group_segment_fixed_size: 0
    .kernarg_segment_align: 8
    .kernarg_segment_size: 288
    .language:       OpenCL C
    .language_version:
      - 2
      - 0
    .max_flat_workgroup_size: 128
    .name:           _ZL26flash_attn_combine_resultsILi128EEvPKfPK15HIP_vector_typeIfLj2EEPfi
    .private_segment_fixed_size: 0
    .sgpr_count:     32
    .sgpr_spill_count: 0
    .symbol:         _ZL26flash_attn_combine_resultsILi128EEvPKfPK15HIP_vector_typeIfLj2EEPfi.kd
    .uniform_work_group_size: 1
    .uses_dynamic_stack: false
    .vgpr_count:     59
    .vgpr_spill_count: 0
    .wavefront_size: 64
  - .agpr_count:     0
    .args:
      - .address_space:  global
        .offset:         0
        .size:           8
        .value_kind:     global_buffer
      - .address_space:  global
        .offset:         8
        .size:           8
        .value_kind:     global_buffer
      - .address_space:  global
        .offset:         16
        .size:           8
        .value_kind:     global_buffer
      - .address_space:  global
        .offset:         24
        .size:           8
        .value_kind:     global_buffer
      - .address_space:  global
        .offset:         32
        .size:           8
        .value_kind:     global_buffer
      - .address_space:  global
        .offset:         40
        .size:           8
        .value_kind:     global_buffer
      - .address_space:  global
        .offset:         48
        .size:           8
        .value_kind:     global_buffer
      - .address_space:  global
        .offset:         56
        .size:           8
        .value_kind:     global_buffer
      - .offset:         64
        .size:           4
        .value_kind:     by_value
      - .offset:         68
        .size:           4
        .value_kind:     by_value
      - .offset:         72
        .size:           4
        .value_kind:     by_value
      - .offset:         76
        .size:           4
        .value_kind:     by_value
      - .offset:         80
        .size:           4
        .value_kind:     by_value
      - .offset:         84
        .size:           4
        .value_kind:     by_value
      - .offset:         88
        .size:           4
        .value_kind:     by_value
      - .offset:         92
        .size:           12
        .value_kind:     by_value
      - .offset:         104
        .size:           4
        .value_kind:     by_value
      - .offset:         108
        .size:           4
        .value_kind:     by_value
      - .offset:         112
        .size:           4
        .value_kind:     by_value
      - .offset:         116
        .size:           4
        .value_kind:     by_value
      - .offset:         120
        .size:           4
        .value_kind:     by_value
      - .offset:         124
        .size:           4
        .value_kind:     by_value
      - .offset:         128
        .size:           4
        .value_kind:     by_value
      - .offset:         132
        .size:           4
        .value_kind:     by_value
      - .offset:         136
        .size:           4
        .value_kind:     by_value
      - .offset:         140
        .size:           4
        .value_kind:     by_value
      - .offset:         144
        .size:           4
        .value_kind:     by_value
      - .offset:         152
        .size:           8
        .value_kind:     by_value
      - .offset:         160
        .size:           4
        .value_kind:     by_value
      - .offset:         164
        .size:           4
        .value_kind:     by_value
      - .offset:         168
        .size:           8
        .value_kind:     by_value
      - .offset:         176
        .size:           4
        .value_kind:     by_value
      - .offset:         180
        .size:           4
        .value_kind:     by_value
      - .offset:         184
        .size:           4
        .value_kind:     by_value
      - .offset:         188
        .size:           4
        .value_kind:     by_value
      - .offset:         192
        .size:           4
        .value_kind:     by_value
      - .offset:         200
        .size:           8
        .value_kind:     by_value
      - .offset:         208
        .size:           4
        .value_kind:     hidden_block_count_x
      - .offset:         212
        .size:           4
        .value_kind:     hidden_block_count_y
      - .offset:         216
        .size:           4
        .value_kind:     hidden_block_count_z
      - .offset:         220
        .size:           2
        .value_kind:     hidden_group_size_x
      - .offset:         222
        .size:           2
        .value_kind:     hidden_group_size_y
      - .offset:         224
        .size:           2
        .value_kind:     hidden_group_size_z
      - .offset:         226
        .size:           2
        .value_kind:     hidden_remainder_x
      - .offset:         228
        .size:           2
        .value_kind:     hidden_remainder_y
      - .offset:         230
        .size:           2
        .value_kind:     hidden_remainder_z
      - .offset:         248
        .size:           8
        .value_kind:     hidden_global_offset_x
      - .offset:         256
        .size:           8
        .value_kind:     hidden_global_offset_y
      - .offset:         264
        .size:           8
        .value_kind:     hidden_global_offset_z
      - .offset:         272
        .size:           2
        .value_kind:     hidden_grid_dims
      - .offset:         288
        .size:           8
        .value_kind:     hidden_hostcall_buffer
    .group_segment_fixed_size: 0
    .kernarg_segment_align: 8
    .kernarg_segment_size: 464
    .language:       OpenCL C
    .language_version:
      - 2
      - 0
    .max_flat_workgroup_size: 256
    .name:           _ZL18flash_attn_ext_f16ILi576ELi512ELi2ELi16ELb0ELb1EEvPKcS1_S1_S1_S1_PKiPfP15HIP_vector_typeIfLj2EEffffjfiS5_IjLj3EEiiiiiiiiiiiliiliiiiil
    .private_segment_fixed_size: 16
    .sgpr_count:     40
    .sgpr_spill_count: 0
    .symbol:         _ZL18flash_attn_ext_f16ILi576ELi512ELi2ELi16ELb0ELb1EEvPKcS1_S1_S1_S1_PKiPfP15HIP_vector_typeIfLj2EEffffjfiS5_IjLj3EEiiiiiiiiiiiliiliiiiil.kd
    .uniform_work_group_size: 1
    .uses_dynamic_stack: false
    .vgpr_count:     52
    .vgpr_spill_count: 0
    .wavefront_size: 64
  - .agpr_count:     0
    .args:
      - .address_space:  global
        .offset:         0
        .size:           8
        .value_kind:     global_buffer
      - .address_space:  global
        .offset:         8
        .size:           8
        .value_kind:     global_buffer
      - .address_space:  global
        .offset:         16
        .size:           8
        .value_kind:     global_buffer
      - .address_space:  global
        .offset:         24
        .size:           8
        .value_kind:     global_buffer
      - .address_space:  global
        .offset:         32
        .size:           8
        .value_kind:     global_buffer
      - .address_space:  global
        .offset:         40
        .size:           8
        .value_kind:     global_buffer
      - .address_space:  global
        .offset:         48
        .size:           8
        .value_kind:     global_buffer
      - .address_space:  global
        .offset:         56
        .size:           8
        .value_kind:     global_buffer
      - .offset:         64
        .size:           4
        .value_kind:     by_value
      - .offset:         68
        .size:           4
        .value_kind:     by_value
      - .offset:         72
        .size:           4
        .value_kind:     by_value
      - .offset:         76
        .size:           4
        .value_kind:     by_value
      - .offset:         80
        .size:           4
        .value_kind:     by_value
      - .offset:         84
        .size:           4
        .value_kind:     by_value
      - .offset:         88
        .size:           4
        .value_kind:     by_value
      - .offset:         92
        .size:           12
        .value_kind:     by_value
      - .offset:         104
        .size:           4
        .value_kind:     by_value
      - .offset:         108
        .size:           4
        .value_kind:     by_value
      - .offset:         112
        .size:           4
        .value_kind:     by_value
      - .offset:         116
        .size:           4
        .value_kind:     by_value
      - .offset:         120
        .size:           4
        .value_kind:     by_value
      - .offset:         124
        .size:           4
        .value_kind:     by_value
      - .offset:         128
        .size:           4
        .value_kind:     by_value
      - .offset:         132
        .size:           4
        .value_kind:     by_value
      - .offset:         136
        .size:           4
        .value_kind:     by_value
      - .offset:         140
        .size:           4
        .value_kind:     by_value
      - .offset:         144
        .size:           4
        .value_kind:     by_value
      - .offset:         152
        .size:           8
        .value_kind:     by_value
      - .offset:         160
        .size:           4
        .value_kind:     by_value
      - .offset:         164
        .size:           4
        .value_kind:     by_value
      - .offset:         168
        .size:           8
        .value_kind:     by_value
      - .offset:         176
        .size:           4
        .value_kind:     by_value
      - .offset:         180
        .size:           4
        .value_kind:     by_value
      - .offset:         184
        .size:           4
        .value_kind:     by_value
      - .offset:         188
        .size:           4
        .value_kind:     by_value
      - .offset:         192
        .size:           4
        .value_kind:     by_value
      - .offset:         200
        .size:           8
        .value_kind:     by_value
      - .offset:         208
        .size:           4
        .value_kind:     hidden_block_count_x
      - .offset:         212
        .size:           4
        .value_kind:     hidden_block_count_y
      - .offset:         216
        .size:           4
        .value_kind:     hidden_block_count_z
      - .offset:         220
        .size:           2
        .value_kind:     hidden_group_size_x
      - .offset:         222
        .size:           2
        .value_kind:     hidden_group_size_y
      - .offset:         224
        .size:           2
        .value_kind:     hidden_group_size_z
      - .offset:         226
        .size:           2
        .value_kind:     hidden_remainder_x
      - .offset:         228
        .size:           2
        .value_kind:     hidden_remainder_y
      - .offset:         230
        .size:           2
        .value_kind:     hidden_remainder_z
      - .offset:         248
        .size:           8
        .value_kind:     hidden_global_offset_x
      - .offset:         256
        .size:           8
        .value_kind:     hidden_global_offset_y
      - .offset:         264
        .size:           8
        .value_kind:     hidden_global_offset_z
      - .offset:         272
        .size:           2
        .value_kind:     hidden_grid_dims
      - .offset:         288
        .size:           8
        .value_kind:     hidden_hostcall_buffer
    .group_segment_fixed_size: 0
    .kernarg_segment_align: 8
    .kernarg_segment_size: 464
    .language:       OpenCL C
    .language_version:
      - 2
      - 0
    .max_flat_workgroup_size: 256
    .name:           _ZL18flash_attn_ext_f16ILi576ELi512ELi2ELi16ELb1ELb1EEvPKcS1_S1_S1_S1_PKiPfP15HIP_vector_typeIfLj2EEffffjfiS5_IjLj3EEiiiiiiiiiiiliiliiiiil
    .private_segment_fixed_size: 16
    .sgpr_count:     40
    .sgpr_spill_count: 0
    .symbol:         _ZL18flash_attn_ext_f16ILi576ELi512ELi2ELi16ELb1ELb1EEvPKcS1_S1_S1_S1_PKiPfP15HIP_vector_typeIfLj2EEffffjfiS5_IjLj3EEiiiiiiiiiiiliiliiiiil.kd
    .uniform_work_group_size: 1
    .uses_dynamic_stack: false
    .vgpr_count:     52
    .vgpr_spill_count: 0
    .wavefront_size: 64
  - .agpr_count:     0
    .args:
      - .address_space:  global
        .offset:         0
        .size:           8
        .value_kind:     global_buffer
      - .address_space:  global
        .offset:         8
        .size:           8
        .value_kind:     global_buffer
      - .offset:         16
        .size:           4
        .value_kind:     by_value
      - .offset:         20
        .size:           4
        .value_kind:     by_value
      - .offset:         24
        .size:           4
        .value_kind:     by_value
      - .offset:         28
        .size:           4
        .value_kind:     by_value
      - .offset:         32
        .size:           4
        .value_kind:     by_value
      - .offset:         36
        .size:           4
        .value_kind:     by_value
      - .offset:         40
        .size:           12
        .value_kind:     by_value
      - .offset:         52
        .size:           12
        .value_kind:     by_value
      - .offset:         64
        .size:           12
        .value_kind:     by_value
    .group_segment_fixed_size: 0
    .kernarg_segment_align: 8
    .kernarg_segment_size: 76
    .language:       OpenCL C
    .language_version:
      - 2
      - 0
    .max_flat_workgroup_size: 512
    .name:           _ZL33flash_attn_stream_k_fixup_uniformILi512ELi2ELi16EEvPfPK15HIP_vector_typeIfLj2EEiiiiiiS1_IjLj3EES5_S5_
    .private_segment_fixed_size: 0
    .sgpr_count:     30
    .sgpr_spill_count: 0
    .symbol:         _ZL33flash_attn_stream_k_fixup_uniformILi512ELi2ELi16EEvPfPK15HIP_vector_typeIfLj2EEiiiiiiS1_IjLj3EES5_S5_.kd
    .uniform_work_group_size: 1
    .uses_dynamic_stack: false
    .vgpr_count:     17
    .vgpr_spill_count: 0
    .wavefront_size: 64
  - .agpr_count:     0
    .args:
      - .address_space:  global
        .offset:         0
        .size:           8
        .value_kind:     global_buffer
      - .address_space:  global
        .offset:         8
        .size:           8
        .value_kind:     global_buffer
      - .offset:         16
        .size:           4
        .value_kind:     by_value
      - .offset:         20
        .size:           4
        .value_kind:     by_value
      - .offset:         24
        .size:           4
        .value_kind:     by_value
      - .offset:         28
        .size:           4
        .value_kind:     by_value
      - .offset:         32
        .size:           12
        .value_kind:     by_value
      - .offset:         44
        .size:           12
        .value_kind:     by_value
      - .offset:         56
        .size:           12
        .value_kind:     by_value
      - .offset:         68
        .size:           12
        .value_kind:     by_value
      - .offset:         80
        .size:           4
        .value_kind:     hidden_block_count_x
      - .offset:         84
        .size:           4
        .value_kind:     hidden_block_count_y
      - .offset:         88
        .size:           4
        .value_kind:     hidden_block_count_z
      - .offset:         92
        .size:           2
        .value_kind:     hidden_group_size_x
      - .offset:         94
        .size:           2
        .value_kind:     hidden_group_size_y
      - .offset:         96
        .size:           2
        .value_kind:     hidden_group_size_z
      - .offset:         98
        .size:           2
        .value_kind:     hidden_remainder_x
      - .offset:         100
        .size:           2
        .value_kind:     hidden_remainder_y
      - .offset:         102
        .size:           2
        .value_kind:     hidden_remainder_z
      - .offset:         120
        .size:           8
        .value_kind:     hidden_global_offset_x
      - .offset:         128
        .size:           8
        .value_kind:     hidden_global_offset_y
      - .offset:         136
        .size:           8
        .value_kind:     hidden_global_offset_z
      - .offset:         144
        .size:           2
        .value_kind:     hidden_grid_dims
    .group_segment_fixed_size: 0
    .kernarg_segment_align: 8
    .kernarg_segment_size: 336
    .language:       OpenCL C
    .language_version:
      - 2
      - 0
    .max_flat_workgroup_size: 512
    .name:           _ZL33flash_attn_stream_k_fixup_generalILi512ELi2ELi16EEvPfPK15HIP_vector_typeIfLj2EEiiiiS1_IjLj3EES5_S5_S5_
    .private_segment_fixed_size: 0
    .sgpr_count:     42
    .sgpr_spill_count: 0
    .symbol:         _ZL33flash_attn_stream_k_fixup_generalILi512ELi2ELi16EEvPfPK15HIP_vector_typeIfLj2EEiiiiS1_IjLj3EES5_S5_S5_.kd
    .uniform_work_group_size: 1
    .uses_dynamic_stack: false
    .vgpr_count:     18
    .vgpr_spill_count: 0
    .wavefront_size: 64
  - .agpr_count:     0
    .args:
      - .address_space:  global
        .offset:         0
        .size:           8
        .value_kind:     global_buffer
      - .address_space:  global
        .offset:         8
        .size:           8
        .value_kind:     global_buffer
      - .address_space:  global
        .offset:         16
        .size:           8
        .value_kind:     global_buffer
      - .offset:         24
        .size:           4
        .value_kind:     by_value
      - .offset:         32
        .size:           4
        .value_kind:     hidden_block_count_x
      - .offset:         36
        .size:           4
        .value_kind:     hidden_block_count_y
      - .offset:         40
        .size:           4
        .value_kind:     hidden_block_count_z
      - .offset:         44
        .size:           2
        .value_kind:     hidden_group_size_x
      - .offset:         46
        .size:           2
        .value_kind:     hidden_group_size_y
      - .offset:         48
        .size:           2
        .value_kind:     hidden_group_size_z
      - .offset:         50
        .size:           2
        .value_kind:     hidden_remainder_x
      - .offset:         52
        .size:           2
        .value_kind:     hidden_remainder_y
      - .offset:         54
        .size:           2
        .value_kind:     hidden_remainder_z
      - .offset:         72
        .size:           8
        .value_kind:     hidden_global_offset_x
      - .offset:         80
        .size:           8
        .value_kind:     hidden_global_offset_y
      - .offset:         88
        .size:           8
        .value_kind:     hidden_global_offset_z
      - .offset:         96
        .size:           2
        .value_kind:     hidden_grid_dims
      - .offset:         152
        .size:           4
        .value_kind:     hidden_dynamic_lds_size
    .group_segment_fixed_size: 0
    .kernarg_segment_align: 8
    .kernarg_segment_size: 288
    .language:       OpenCL C
    .language_version:
      - 2
      - 0
    .max_flat_workgroup_size: 512
    .name:           _ZL26flash_attn_combine_resultsILi512EEvPKfPK15HIP_vector_typeIfLj2EEPfi
    .private_segment_fixed_size: 0
    .sgpr_count:     32
    .sgpr_spill_count: 0
    .symbol:         _ZL26flash_attn_combine_resultsILi512EEvPKfPK15HIP_vector_typeIfLj2EEPfi.kd
    .uniform_work_group_size: 1
    .uses_dynamic_stack: false
    .vgpr_count:     59
    .vgpr_spill_count: 0
    .wavefront_size: 64
amdhsa.target:   amdgcn-amd-amdhsa--gfx950
amdhsa.version:
  - 1
  - 2
...

	.end_amdgpu_metadata
